;; amdgpu-corpus repo=zjin-lcf/HeCBench kind=compiled arch=gfx1100 opt=O3
	.text
	.amdgcn_target "amdgcn-amd-amdhsa--gfx1100"
	.amdhsa_code_object_version 6
	.section	.text._Z20BlockPrefixSumKernelILi1024ELi1ELN6hipcub16HIPCUB_304000_NS18BlockScanAlgorithmE1EEvPKiPi,"axG",@progbits,_Z20BlockPrefixSumKernelILi1024ELi1ELN6hipcub16HIPCUB_304000_NS18BlockScanAlgorithmE1EEvPKiPi,comdat
	.protected	_Z20BlockPrefixSumKernelILi1024ELi1ELN6hipcub16HIPCUB_304000_NS18BlockScanAlgorithmE1EEvPKiPi ; -- Begin function _Z20BlockPrefixSumKernelILi1024ELi1ELN6hipcub16HIPCUB_304000_NS18BlockScanAlgorithmE1EEvPKiPi
	.globl	_Z20BlockPrefixSumKernelILi1024ELi1ELN6hipcub16HIPCUB_304000_NS18BlockScanAlgorithmE1EEvPKiPi
	.p2align	8
	.type	_Z20BlockPrefixSumKernelILi1024ELi1ELN6hipcub16HIPCUB_304000_NS18BlockScanAlgorithmE1EEvPKiPi,@function
_Z20BlockPrefixSumKernelILi1024ELi1ELN6hipcub16HIPCUB_304000_NS18BlockScanAlgorithmE1EEvPKiPi: ; @_Z20BlockPrefixSumKernelILi1024ELi1ELN6hipcub16HIPCUB_304000_NS18BlockScanAlgorithmE1EEvPKiPi
; %bb.0:
	s_load_b128 s[0:3], s[0:1], 0x0
	v_mbcnt_lo_u32_b32 v4, -1, 0
	v_and_b32_e32 v3, 0x3e0, v0
	s_delay_alu instid0(VALU_DEP_2) | instskip(NEXT) | instid1(VALU_DEP_2)
	v_lshlrev_b32_e32 v1, 2, v4
	v_lshlrev_b32_e32 v2, 2, v3
	v_or_b32_e32 v3, v4, v3
	s_delay_alu instid0(VALU_DEP_1) | instskip(SKIP_2) | instid1(VALU_DEP_1)
	v_lshlrev_b32_e32 v3, 2, v3
	s_waitcnt lgkmcnt(0)
	v_add_co_u32 v5, s0, s0, v1
	v_add_co_ci_u32_e64 v6, null, s1, 0, s0
	s_mov_b32 s0, exec_lo
	s_delay_alu instid0(VALU_DEP_2) | instskip(NEXT) | instid1(VALU_DEP_2)
	v_add_co_u32 v5, vcc_lo, v5, v2
	v_add_co_ci_u32_e32 v6, vcc_lo, 0, v6, vcc_lo
	global_load_b32 v5, v[5:6], off
	v_lshrrev_b32_e32 v6, 5, v0
	s_delay_alu instid0(VALU_DEP_1)
	v_add_lshl_u32 v6, v6, v0, 2
	s_waitcnt vmcnt(0)
	ds_store_b32 v3, v5
	; wave barrier
	ds_load_b32 v5, v3
	s_waitcnt lgkmcnt(0)
	s_barrier
	buffer_gl0_inv
	ds_store_b32 v6, v5
	s_waitcnt lgkmcnt(0)
	s_barrier
	buffer_gl0_inv
	v_cmpx_gt_u32_e32 32, v0
	s_cbranch_execz .LBB0_2
; %bb.1:
	v_mul_u32_u24_e32 v6, 33, v0
	s_delay_alu instid0(VALU_DEP_1)
	v_lshlrev_b32_e32 v17, 2, v6
	ds_load_2addr_b32 v[6:7], v17 offset1:1
	ds_load_2addr_b32 v[8:9], v17 offset0:2 offset1:3
	ds_load_2addr_b32 v[10:11], v17 offset0:4 offset1:5
	ds_load_2addr_b32 v[12:13], v17 offset0:6 offset1:7
	ds_load_2addr_b32 v[14:15], v17 offset0:8 offset1:9
	s_waitcnt lgkmcnt(4)
	v_add_nc_u32_e32 v7, v7, v6
	s_waitcnt lgkmcnt(3)
	s_delay_alu instid0(VALU_DEP_1)
	v_add3_u32 v9, v7, v8, v9
	ds_load_2addr_b32 v[7:8], v17 offset0:10 offset1:11
	s_waitcnt lgkmcnt(3)
	v_add3_u32 v11, v9, v10, v11
	ds_load_2addr_b32 v[9:10], v17 offset0:12 offset1:13
	s_waitcnt lgkmcnt(3)
	;; [unrolled: 3-line block ×9, first 2 shown]
	v_add3_u32 v18, v15, v9, v10
	ds_load_2addr_b32 v[9:10], v17 offset0:28 offset1:29
	ds_load_2addr_b32 v[15:16], v17 offset0:30 offset1:31
	; wave barrier
	s_waitcnt lgkmcnt(4)
	v_add3_u32 v11, v18, v11, v12
	s_waitcnt lgkmcnt(3)
	s_delay_alu instid0(VALU_DEP_1) | instskip(SKIP_1) | instid1(VALU_DEP_1)
	v_add3_u32 v11, v11, v13, v14
	s_waitcnt lgkmcnt(2)
	v_add3_u32 v7, v11, v7, v8
	s_waitcnt lgkmcnt(1)
	s_delay_alu instid0(VALU_DEP_1) | instskip(SKIP_2) | instid1(VALU_DEP_2)
	v_add3_u32 v7, v7, v9, v10
	v_bfe_i32 v10, v4, 4, 1
	s_waitcnt lgkmcnt(0)
	v_add3_u32 v7, v7, v15, v16
	s_delay_alu instid0(VALU_DEP_1) | instskip(SKIP_1) | instid1(VALU_DEP_1)
	v_mov_b32_dpp v9, v7 row_shr:1 row_mask:0xf bank_mask:0xf
	v_and_b32_e32 v8, 15, v4
	v_cmp_ne_u32_e32 vcc_lo, 0, v8
	s_delay_alu instid0(VALU_DEP_3) | instskip(SKIP_1) | instid1(VALU_DEP_2)
	v_cndmask_b32_e32 v9, 0, v9, vcc_lo
	v_cmp_lt_u32_e32 vcc_lo, 1, v8
	v_add_nc_u32_e32 v7, v9, v7
	s_delay_alu instid0(VALU_DEP_1) | instskip(NEXT) | instid1(VALU_DEP_1)
	v_mov_b32_dpp v9, v7 row_shr:2 row_mask:0xf bank_mask:0xf
	v_cndmask_b32_e32 v9, 0, v9, vcc_lo
	v_cmp_lt_u32_e32 vcc_lo, 3, v8
	s_delay_alu instid0(VALU_DEP_2) | instskip(NEXT) | instid1(VALU_DEP_1)
	v_add_nc_u32_e32 v7, v7, v9
	v_mov_b32_dpp v9, v7 row_shr:4 row_mask:0xf bank_mask:0xf
	s_delay_alu instid0(VALU_DEP_1) | instskip(SKIP_1) | instid1(VALU_DEP_2)
	v_cndmask_b32_e32 v9, 0, v9, vcc_lo
	v_cmp_lt_u32_e32 vcc_lo, 7, v8
	v_add_nc_u32_e32 v7, v7, v9
	s_delay_alu instid0(VALU_DEP_1) | instskip(NEXT) | instid1(VALU_DEP_1)
	v_mov_b32_dpp v9, v7 row_shr:8 row_mask:0xf bank_mask:0xf
	v_dual_cndmask_b32 v8, 0, v9 :: v_dual_add_nc_u32 v9, -1, v4
	s_delay_alu instid0(VALU_DEP_1) | instskip(NEXT) | instid1(VALU_DEP_2)
	v_add_nc_u32_e32 v7, v7, v8
	v_cmp_gt_i32_e32 vcc_lo, 0, v9
	ds_swizzle_b32 v8, v7 offset:swizzle(BROADCAST,32,15)
	v_cndmask_b32_e32 v4, v9, v4, vcc_lo
	v_cmp_eq_u32_e32 vcc_lo, 0, v0
	s_delay_alu instid0(VALU_DEP_2) | instskip(SKIP_2) | instid1(VALU_DEP_1)
	v_lshlrev_b32_e32 v4, 2, v4
	s_waitcnt lgkmcnt(0)
	v_and_b32_e32 v8, v10, v8
	v_add_nc_u32_e32 v7, v7, v8
	ds_bpermute_b32 v4, v4, v7
	s_waitcnt lgkmcnt(0)
	v_add_nc_u32_e32 v4, v4, v6
	s_delay_alu instid0(VALU_DEP_1)
	v_cndmask_b32_e32 v12, v4, v5, vcc_lo
	ds_store_b32 v17, v12
	; wave barrier
	ds_load_2addr_b32 v[4:5], v17 offset0:1 offset1:2
	ds_load_2addr_b32 v[6:7], v17 offset0:3 offset1:4
	;; [unrolled: 1-line block ×4, first 2 shown]
	s_waitcnt lgkmcnt(3)
	v_add_nc_u32_e32 v12, v4, v12
	s_delay_alu instid0(VALU_DEP_1) | instskip(SKIP_3) | instid1(VALU_DEP_1)
	v_add_nc_u32_e32 v13, v5, v12
	ds_load_2addr_b32 v[4:5], v17 offset0:9 offset1:10
	s_waitcnt lgkmcnt(3)
	v_add_nc_u32_e32 v14, v6, v13
	v_add_nc_u32_e32 v15, v7, v14
	ds_load_2addr_b32 v[6:7], v17 offset0:11 offset1:12
	s_waitcnt lgkmcnt(3)
	v_add_nc_u32_e32 v16, v8, v15
	s_delay_alu instid0(VALU_DEP_1) | instskip(SKIP_1) | instid1(VALU_DEP_1)
	v_add_nc_u32_e32 v18, v9, v16
	s_waitcnt lgkmcnt(2)
	v_add_nc_u32_e32 v19, v10, v18
	s_delay_alu instid0(VALU_DEP_1) | instskip(SKIP_4) | instid1(VALU_DEP_1)
	v_add_nc_u32_e32 v20, v11, v19
	ds_load_2addr_b32 v[8:9], v17 offset0:13 offset1:14
	ds_load_2addr_b32 v[10:11], v17 offset0:15 offset1:16
	s_waitcnt lgkmcnt(3)
	v_add_nc_u32_e32 v21, v4, v20
	v_add_nc_u32_e32 v22, v5, v21
	ds_load_2addr_b32 v[4:5], v17 offset0:17 offset1:18
	s_waitcnt lgkmcnt(3)
	v_add_nc_u32_e32 v23, v6, v22
	s_delay_alu instid0(VALU_DEP_1) | instskip(SKIP_3) | instid1(VALU_DEP_1)
	v_add_nc_u32_e32 v24, v7, v23
	ds_load_2addr_b32 v[6:7], v17 offset0:19 offset1:20
	s_waitcnt lgkmcnt(3)
	v_add_nc_u32_e32 v25, v8, v24
	v_add_nc_u32_e32 v26, v9, v25
	s_waitcnt lgkmcnt(2)
	s_delay_alu instid0(VALU_DEP_1) | instskip(NEXT) | instid1(VALU_DEP_1)
	v_add_nc_u32_e32 v27, v10, v26
	v_add_nc_u32_e32 v28, v11, v27
	ds_load_2addr_b32 v[8:9], v17 offset0:21 offset1:22
	ds_load_2addr_b32 v[10:11], v17 offset0:23 offset1:24
	s_waitcnt lgkmcnt(3)
	v_add_nc_u32_e32 v29, v4, v28
	s_delay_alu instid0(VALU_DEP_1) | instskip(SKIP_3) | instid1(VALU_DEP_1)
	v_add_nc_u32_e32 v30, v5, v29
	ds_load_2addr_b32 v[4:5], v17 offset0:25 offset1:26
	s_waitcnt lgkmcnt(3)
	v_add_nc_u32_e32 v31, v6, v30
	v_add_nc_u32_e32 v32, v7, v31
	ds_load_2addr_b32 v[6:7], v17 offset0:27 offset1:28
	s_waitcnt lgkmcnt(3)
	v_add_nc_u32_e32 v33, v8, v32
	s_delay_alu instid0(VALU_DEP_1)
	v_add_nc_u32_e32 v34, v9, v33
	ds_load_2addr_b32 v[8:9], v17 offset0:29 offset1:30
	ds_load_b32 v35, v17 offset:124
	ds_store_2addr_b32 v17, v12, v13 offset0:1 offset1:2
	ds_store_2addr_b32 v17, v14, v15 offset0:3 offset1:4
	;; [unrolled: 1-line block ×8, first 2 shown]
	s_waitcnt lgkmcnt(12)
	v_add_nc_u32_e32 v10, v10, v34
	s_delay_alu instid0(VALU_DEP_1) | instskip(SKIP_1) | instid1(VALU_DEP_1)
	v_add_nc_u32_e32 v11, v11, v10
	s_waitcnt lgkmcnt(11)
	v_add_nc_u32_e32 v4, v4, v11
	s_delay_alu instid0(VALU_DEP_1) | instskip(SKIP_1) | instid1(VALU_DEP_1)
	v_add_nc_u32_e32 v5, v5, v4
	;; [unrolled: 4-line block ×4, first 2 shown]
	s_waitcnt lgkmcnt(8)
	v_add_nc_u32_e32 v12, v35, v9
	ds_store_2addr_b32 v17, v29, v30 offset0:17 offset1:18
	ds_store_2addr_b32 v17, v31, v32 offset0:19 offset1:20
	;; [unrolled: 1-line block ×7, first 2 shown]
	ds_store_b32 v17, v12 offset:124
.LBB0_2:
	s_or_b32 exec_lo, exec_lo, s0
	v_cmp_eq_u32_e32 vcc_lo, 0, v0
	v_dual_mov_b32 v4, 0 :: v_dual_mov_b32 v5, 0
	s_mov_b32 s1, exec_lo
	s_waitcnt lgkmcnt(0)
	s_barrier
	buffer_gl0_inv
	v_cmpx_ne_u32_e32 0, v0
	s_cbranch_execz .LBB0_4
; %bb.3:
	v_add_nc_u32_e32 v0, -1, v0
	s_delay_alu instid0(VALU_DEP_1) | instskip(NEXT) | instid1(VALU_DEP_1)
	v_lshrrev_b32_e32 v5, 5, v0
	v_add_lshl_u32 v0, v5, v0, 2
	ds_load_b32 v5, v0
.LBB0_4:
	s_or_b32 exec_lo, exec_lo, s1
	ds_load_b32 v0, v4 offset:4216
	s_waitcnt lgkmcnt(0)
	s_barrier
	buffer_gl0_inv
	ds_store_b32 v3, v5
	; wave barrier
	ds_load_b32 v3, v3
	v_add_co_u32 v1, s0, s2, v1
	s_delay_alu instid0(VALU_DEP_1) | instskip(NEXT) | instid1(VALU_DEP_2)
	v_add_co_ci_u32_e64 v4, null, s3, 0, s0
	v_add_co_u32 v1, s0, v1, v2
	s_delay_alu instid0(VALU_DEP_1)
	v_add_co_ci_u32_e64 v2, s0, 0, v4, s0
	s_waitcnt lgkmcnt(0)
	global_store_b32 v[1:2], v3, off
	s_and_saveexec_b32 s0, vcc_lo
	s_cbranch_execz .LBB0_6
; %bb.5:
	v_mov_b32_e32 v1, 0x1000
	global_store_b32 v1, v0, s[2:3]
.LBB0_6:
	s_nop 0
	s_sendmsg sendmsg(MSG_DEALLOC_VGPRS)
	s_endpgm
	.section	.rodata,"a",@progbits
	.p2align	6, 0x0
	.amdhsa_kernel _Z20BlockPrefixSumKernelILi1024ELi1ELN6hipcub16HIPCUB_304000_NS18BlockScanAlgorithmE1EEvPKiPi
		.amdhsa_group_segment_fixed_size 4224
		.amdhsa_private_segment_fixed_size 0
		.amdhsa_kernarg_size 16
		.amdhsa_user_sgpr_count 15
		.amdhsa_user_sgpr_dispatch_ptr 0
		.amdhsa_user_sgpr_queue_ptr 0
		.amdhsa_user_sgpr_kernarg_segment_ptr 1
		.amdhsa_user_sgpr_dispatch_id 0
		.amdhsa_user_sgpr_private_segment_size 0
		.amdhsa_wavefront_size32 1
		.amdhsa_uses_dynamic_stack 0
		.amdhsa_enable_private_segment 0
		.amdhsa_system_sgpr_workgroup_id_x 1
		.amdhsa_system_sgpr_workgroup_id_y 0
		.amdhsa_system_sgpr_workgroup_id_z 0
		.amdhsa_system_sgpr_workgroup_info 0
		.amdhsa_system_vgpr_workitem_id 0
		.amdhsa_next_free_vgpr 36
		.amdhsa_next_free_sgpr 4
		.amdhsa_reserve_vcc 1
		.amdhsa_float_round_mode_32 0
		.amdhsa_float_round_mode_16_64 0
		.amdhsa_float_denorm_mode_32 3
		.amdhsa_float_denorm_mode_16_64 3
		.amdhsa_dx10_clamp 1
		.amdhsa_ieee_mode 1
		.amdhsa_fp16_overflow 0
		.amdhsa_workgroup_processor_mode 1
		.amdhsa_memory_ordered 1
		.amdhsa_forward_progress 0
		.amdhsa_shared_vgpr_count 0
		.amdhsa_exception_fp_ieee_invalid_op 0
		.amdhsa_exception_fp_denorm_src 0
		.amdhsa_exception_fp_ieee_div_zero 0
		.amdhsa_exception_fp_ieee_overflow 0
		.amdhsa_exception_fp_ieee_underflow 0
		.amdhsa_exception_fp_ieee_inexact 0
		.amdhsa_exception_int_div_zero 0
	.end_amdhsa_kernel
	.section	.text._Z20BlockPrefixSumKernelILi1024ELi1ELN6hipcub16HIPCUB_304000_NS18BlockScanAlgorithmE1EEvPKiPi,"axG",@progbits,_Z20BlockPrefixSumKernelILi1024ELi1ELN6hipcub16HIPCUB_304000_NS18BlockScanAlgorithmE1EEvPKiPi,comdat
.Lfunc_end0:
	.size	_Z20BlockPrefixSumKernelILi1024ELi1ELN6hipcub16HIPCUB_304000_NS18BlockScanAlgorithmE1EEvPKiPi, .Lfunc_end0-_Z20BlockPrefixSumKernelILi1024ELi1ELN6hipcub16HIPCUB_304000_NS18BlockScanAlgorithmE1EEvPKiPi
                                        ; -- End function
	.section	.AMDGPU.csdata,"",@progbits
; Kernel info:
; codeLenInByte = 1408
; NumSgprs: 6
; NumVgprs: 36
; ScratchSize: 0
; MemoryBound: 0
; FloatMode: 240
; IeeeMode: 1
; LDSByteSize: 4224 bytes/workgroup (compile time only)
; SGPRBlocks: 0
; VGPRBlocks: 4
; NumSGPRsForWavesPerEU: 6
; NumVGPRsForWavesPerEU: 36
; Occupancy: 16
; WaveLimiterHint : 0
; COMPUTE_PGM_RSRC2:SCRATCH_EN: 0
; COMPUTE_PGM_RSRC2:USER_SGPR: 15
; COMPUTE_PGM_RSRC2:TRAP_HANDLER: 0
; COMPUTE_PGM_RSRC2:TGID_X_EN: 1
; COMPUTE_PGM_RSRC2:TGID_Y_EN: 0
; COMPUTE_PGM_RSRC2:TGID_Z_EN: 0
; COMPUTE_PGM_RSRC2:TIDIG_COMP_CNT: 0
	.section	.text._Z20BlockPrefixSumKernelILi512ELi2ELN6hipcub16HIPCUB_304000_NS18BlockScanAlgorithmE1EEvPKiPi,"axG",@progbits,_Z20BlockPrefixSumKernelILi512ELi2ELN6hipcub16HIPCUB_304000_NS18BlockScanAlgorithmE1EEvPKiPi,comdat
	.protected	_Z20BlockPrefixSumKernelILi512ELi2ELN6hipcub16HIPCUB_304000_NS18BlockScanAlgorithmE1EEvPKiPi ; -- Begin function _Z20BlockPrefixSumKernelILi512ELi2ELN6hipcub16HIPCUB_304000_NS18BlockScanAlgorithmE1EEvPKiPi
	.globl	_Z20BlockPrefixSumKernelILi512ELi2ELN6hipcub16HIPCUB_304000_NS18BlockScanAlgorithmE1EEvPKiPi
	.p2align	8
	.type	_Z20BlockPrefixSumKernelILi512ELi2ELN6hipcub16HIPCUB_304000_NS18BlockScanAlgorithmE1EEvPKiPi,@function
_Z20BlockPrefixSumKernelILi512ELi2ELN6hipcub16HIPCUB_304000_NS18BlockScanAlgorithmE1EEvPKiPi: ; @_Z20BlockPrefixSumKernelILi512ELi2ELN6hipcub16HIPCUB_304000_NS18BlockScanAlgorithmE1EEvPKiPi
; %bb.0:
	s_load_b128 s[0:3], s[0:1], 0x0
	v_lshlrev_b32_e32 v9, 1, v0
	v_mbcnt_lo_u32_b32 v8, -1, 0
	s_delay_alu instid0(VALU_DEP_2) | instskip(NEXT) | instid1(VALU_DEP_2)
	v_and_b32_e32 v5, 0x7c0, v9
	v_lshlrev_b32_e32 v3, 2, v8
	v_and_or_b32 v7, 0x3e0, v0, v8
	s_delay_alu instid0(VALU_DEP_3) | instskip(NEXT) | instid1(VALU_DEP_2)
	v_lshlrev_b32_e32 v4, 2, v5
	v_lshlrev_b32_e32 v12, 1, v7
	v_bfe_u32 v7, v7, 4, 27
	s_delay_alu instid0(VALU_DEP_1) | instskip(SKIP_2) | instid1(VALU_DEP_1)
	v_add_lshl_u32 v7, v7, v12, 2
	s_waitcnt lgkmcnt(0)
	v_add_co_u32 v1, s0, s0, v3
	v_add_co_ci_u32_e64 v2, null, s1, 0, s0
	s_mov_b32 s0, exec_lo
	s_delay_alu instid0(VALU_DEP_2) | instskip(NEXT) | instid1(VALU_DEP_2)
	v_add_co_u32 v1, vcc_lo, v1, v4
	v_add_co_ci_u32_e32 v2, vcc_lo, 0, v2, vcc_lo
	s_clause 0x1
	global_load_b32 v10, v[1:2], off
	global_load_b32 v1, v[1:2], off offset:128
	v_or_b32_e32 v2, v8, v5
	v_lshrrev_b32_e32 v5, 5, v5
	s_delay_alu instid0(VALU_DEP_2) | instskip(NEXT) | instid1(VALU_DEP_2)
	v_or_b32_e32 v6, 32, v2
	v_add_lshl_u32 v5, v5, v2, 2
	s_delay_alu instid0(VALU_DEP_2) | instskip(NEXT) | instid1(VALU_DEP_1)
	v_lshrrev_b32_e32 v11, 5, v6
	v_add_lshl_u32 v6, v11, v6, 2
	s_waitcnt vmcnt(1)
	ds_store_b32 v5, v10
	s_waitcnt vmcnt(0)
	ds_store_b32 v6, v1
	; wave barrier
	ds_load_2addr_b32 v[1:2], v7 offset1:1
	v_lshrrev_b32_e32 v10, 5, v0
	s_waitcnt lgkmcnt(0)
	s_barrier
	buffer_gl0_inv
	v_add_lshl_u32 v10, v10, v0, 2
	v_add_nc_u32_e32 v2, v2, v1
	ds_store_b32 v10, v2
	s_waitcnt lgkmcnt(0)
	s_barrier
	buffer_gl0_inv
	v_cmpx_gt_u32_e32 32, v0
	s_cbranch_execz .LBB1_2
; %bb.1:
	v_and_b32_e32 v9, 0x7fc, v9
	s_delay_alu instid0(VALU_DEP_1)
	v_lshl_or_b32 v21, v0, 6, v9
	ds_load_2addr_b32 v[9:10], v21 offset1:1
	ds_load_2addr_b32 v[11:12], v21 offset0:2 offset1:3
	ds_load_2addr_b32 v[13:14], v21 offset0:4 offset1:5
	;; [unrolled: 1-line block ×4, first 2 shown]
	s_waitcnt lgkmcnt(4)
	v_add_nc_u32_e32 v10, v10, v9
	s_waitcnt lgkmcnt(3)
	s_delay_alu instid0(VALU_DEP_1)
	v_add3_u32 v12, v10, v11, v12
	ds_load_2addr_b32 v[10:11], v21 offset0:10 offset1:11
	s_waitcnt lgkmcnt(3)
	v_add3_u32 v14, v12, v13, v14
	ds_load_2addr_b32 v[12:13], v21 offset0:12 offset1:13
	ds_load_2addr_b32 v[19:20], v21 offset0:14 offset1:15
	; wave barrier
	s_waitcnt lgkmcnt(4)
	v_add3_u32 v14, v14, v15, v16
	s_waitcnt lgkmcnt(3)
	s_delay_alu instid0(VALU_DEP_1) | instskip(SKIP_1) | instid1(VALU_DEP_1)
	v_add3_u32 v14, v14, v17, v18
	s_waitcnt lgkmcnt(2)
	v_add3_u32 v10, v14, v10, v11
	v_and_b32_e32 v11, 15, v8
	s_waitcnt lgkmcnt(1)
	s_delay_alu instid0(VALU_DEP_2) | instskip(NEXT) | instid1(VALU_DEP_2)
	v_add3_u32 v10, v10, v12, v13
	v_cmp_ne_u32_e32 vcc_lo, 0, v11
	v_bfe_i32 v13, v8, 4, 1
	s_waitcnt lgkmcnt(0)
	s_delay_alu instid0(VALU_DEP_3) | instskip(NEXT) | instid1(VALU_DEP_1)
	v_add3_u32 v10, v10, v19, v20
	v_mov_b32_dpp v12, v10 row_shr:1 row_mask:0xf bank_mask:0xf
	s_delay_alu instid0(VALU_DEP_1) | instskip(SKIP_1) | instid1(VALU_DEP_2)
	v_cndmask_b32_e32 v12, 0, v12, vcc_lo
	v_cmp_lt_u32_e32 vcc_lo, 1, v11
	v_add_nc_u32_e32 v10, v12, v10
	s_delay_alu instid0(VALU_DEP_1) | instskip(NEXT) | instid1(VALU_DEP_1)
	v_mov_b32_dpp v12, v10 row_shr:2 row_mask:0xf bank_mask:0xf
	v_cndmask_b32_e32 v12, 0, v12, vcc_lo
	v_cmp_lt_u32_e32 vcc_lo, 3, v11
	s_delay_alu instid0(VALU_DEP_2) | instskip(NEXT) | instid1(VALU_DEP_1)
	v_add_nc_u32_e32 v10, v10, v12
	v_mov_b32_dpp v12, v10 row_shr:4 row_mask:0xf bank_mask:0xf
	s_delay_alu instid0(VALU_DEP_1) | instskip(SKIP_1) | instid1(VALU_DEP_2)
	v_cndmask_b32_e32 v12, 0, v12, vcc_lo
	v_cmp_lt_u32_e32 vcc_lo, 7, v11
	v_add_nc_u32_e32 v10, v10, v12
	s_delay_alu instid0(VALU_DEP_1) | instskip(NEXT) | instid1(VALU_DEP_1)
	v_mov_b32_dpp v12, v10 row_shr:8 row_mask:0xf bank_mask:0xf
	v_cndmask_b32_e32 v11, 0, v12, vcc_lo
	v_add_nc_u32_e32 v12, -1, v8
	s_delay_alu instid0(VALU_DEP_2) | instskip(NEXT) | instid1(VALU_DEP_2)
	v_add_nc_u32_e32 v10, v10, v11
	v_cmp_gt_i32_e32 vcc_lo, 0, v12
	ds_swizzle_b32 v11, v10 offset:swizzle(BROADCAST,32,15)
	v_cndmask_b32_e32 v8, v12, v8, vcc_lo
	v_cmp_eq_u32_e32 vcc_lo, 0, v0
	s_delay_alu instid0(VALU_DEP_2) | instskip(SKIP_2) | instid1(VALU_DEP_1)
	v_lshlrev_b32_e32 v8, 2, v8
	s_waitcnt lgkmcnt(0)
	v_and_b32_e32 v11, v13, v11
	v_add_nc_u32_e32 v10, v10, v11
	ds_bpermute_b32 v8, v8, v10
	s_waitcnt lgkmcnt(0)
	v_add_nc_u32_e32 v8, v8, v9
	s_delay_alu instid0(VALU_DEP_1)
	v_cndmask_b32_e32 v2, v8, v2, vcc_lo
	ds_store_b32 v21, v2
	; wave barrier
	ds_load_2addr_b32 v[8:9], v21 offset0:1 offset1:2
	ds_load_2addr_b32 v[10:11], v21 offset0:3 offset1:4
	;; [unrolled: 1-line block ×4, first 2 shown]
	s_waitcnt lgkmcnt(3)
	v_add_nc_u32_e32 v2, v8, v2
	s_delay_alu instid0(VALU_DEP_1) | instskip(SKIP_3) | instid1(VALU_DEP_1)
	v_add_nc_u32_e32 v16, v9, v2
	ds_load_2addr_b32 v[8:9], v21 offset0:9 offset1:10
	s_waitcnt lgkmcnt(3)
	v_add_nc_u32_e32 v17, v10, v16
	v_add_nc_u32_e32 v18, v11, v17
	ds_load_2addr_b32 v[10:11], v21 offset0:11 offset1:12
	s_waitcnt lgkmcnt(3)
	v_add_nc_u32_e32 v19, v12, v18
	s_delay_alu instid0(VALU_DEP_1) | instskip(SKIP_4) | instid1(VALU_DEP_1)
	v_add_nc_u32_e32 v20, v13, v19
	ds_load_2addr_b32 v[12:13], v21 offset0:13 offset1:14
	ds_load_b32 v22, v21 offset:60
	s_waitcnt lgkmcnt(4)
	v_add_nc_u32_e32 v14, v14, v20
	v_add_nc_u32_e32 v15, v15, v14
	s_waitcnt lgkmcnt(3)
	s_delay_alu instid0(VALU_DEP_1) | instskip(NEXT) | instid1(VALU_DEP_1)
	v_add_nc_u32_e32 v8, v8, v15
	v_add_nc_u32_e32 v9, v9, v8
	s_waitcnt lgkmcnt(2)
	s_delay_alu instid0(VALU_DEP_1) | instskip(NEXT) | instid1(VALU_DEP_1)
	;; [unrolled: 4-line block ×3, first 2 shown]
	v_add_nc_u32_e32 v12, v12, v11
	v_add_nc_u32_e32 v13, v13, v12
	s_waitcnt lgkmcnt(0)
	s_delay_alu instid0(VALU_DEP_1)
	v_add_nc_u32_e32 v22, v22, v13
	ds_store_2addr_b32 v21, v2, v16 offset0:1 offset1:2
	ds_store_2addr_b32 v21, v17, v18 offset0:3 offset1:4
	;; [unrolled: 1-line block ×7, first 2 shown]
	ds_store_b32 v21, v22 offset:60
.LBB1_2:
	s_or_b32 exec_lo, exec_lo, s0
	v_cmp_eq_u32_e32 vcc_lo, 0, v0
	v_mov_b32_e32 v2, 0
	v_mov_b32_e32 v8, 0
	s_mov_b32 s1, exec_lo
	s_waitcnt lgkmcnt(0)
	s_barrier
	buffer_gl0_inv
	v_cmpx_ne_u32_e32 0, v0
	s_cbranch_execz .LBB1_4
; %bb.3:
	v_add_nc_u32_e32 v0, -1, v0
	s_delay_alu instid0(VALU_DEP_1) | instskip(NEXT) | instid1(VALU_DEP_1)
	v_lshrrev_b32_e32 v8, 5, v0
	v_add_lshl_u32 v0, v8, v0, 2
	ds_load_b32 v8, v0
.LBB1_4:
	s_or_b32 exec_lo, exec_lo, s1
	s_waitcnt lgkmcnt(0)
	v_add_nc_u32_e32 v1, v8, v1
	ds_load_b32 v0, v2 offset:2104
	s_waitcnt lgkmcnt(0)
	s_barrier
	buffer_gl0_inv
	ds_store_2addr_b32 v7, v8, v1 offset1:1
	; wave barrier
	ds_load_b32 v5, v5
	ds_load_b32 v6, v6
	v_add_co_u32 v1, s0, s2, v3
	s_delay_alu instid0(VALU_DEP_1) | instskip(NEXT) | instid1(VALU_DEP_2)
	v_add_co_ci_u32_e64 v2, null, s3, 0, s0
	v_add_co_u32 v1, s0, v1, v4
	s_delay_alu instid0(VALU_DEP_1)
	v_add_co_ci_u32_e64 v2, s0, 0, v2, s0
	s_waitcnt lgkmcnt(1)
	global_store_b32 v[1:2], v5, off
	s_waitcnt lgkmcnt(0)
	global_store_b32 v[1:2], v6, off offset:128
	s_and_saveexec_b32 s0, vcc_lo
	s_cbranch_execz .LBB1_6
; %bb.5:
	v_mov_b32_e32 v1, 0x1000
	global_store_b32 v1, v0, s[2:3]
.LBB1_6:
	s_nop 0
	s_sendmsg sendmsg(MSG_DEALLOC_VGPRS)
	s_endpgm
	.section	.rodata,"a",@progbits
	.p2align	6, 0x0
	.amdhsa_kernel _Z20BlockPrefixSumKernelILi512ELi2ELN6hipcub16HIPCUB_304000_NS18BlockScanAlgorithmE1EEvPKiPi
		.amdhsa_group_segment_fixed_size 4224
		.amdhsa_private_segment_fixed_size 0
		.amdhsa_kernarg_size 16
		.amdhsa_user_sgpr_count 15
		.amdhsa_user_sgpr_dispatch_ptr 0
		.amdhsa_user_sgpr_queue_ptr 0
		.amdhsa_user_sgpr_kernarg_segment_ptr 1
		.amdhsa_user_sgpr_dispatch_id 0
		.amdhsa_user_sgpr_private_segment_size 0
		.amdhsa_wavefront_size32 1
		.amdhsa_uses_dynamic_stack 0
		.amdhsa_enable_private_segment 0
		.amdhsa_system_sgpr_workgroup_id_x 1
		.amdhsa_system_sgpr_workgroup_id_y 0
		.amdhsa_system_sgpr_workgroup_id_z 0
		.amdhsa_system_sgpr_workgroup_info 0
		.amdhsa_system_vgpr_workitem_id 0
		.amdhsa_next_free_vgpr 23
		.amdhsa_next_free_sgpr 4
		.amdhsa_reserve_vcc 1
		.amdhsa_float_round_mode_32 0
		.amdhsa_float_round_mode_16_64 0
		.amdhsa_float_denorm_mode_32 3
		.amdhsa_float_denorm_mode_16_64 3
		.amdhsa_dx10_clamp 1
		.amdhsa_ieee_mode 1
		.amdhsa_fp16_overflow 0
		.amdhsa_workgroup_processor_mode 1
		.amdhsa_memory_ordered 1
		.amdhsa_forward_progress 0
		.amdhsa_shared_vgpr_count 0
		.amdhsa_exception_fp_ieee_invalid_op 0
		.amdhsa_exception_fp_denorm_src 0
		.amdhsa_exception_fp_ieee_div_zero 0
		.amdhsa_exception_fp_ieee_overflow 0
		.amdhsa_exception_fp_ieee_underflow 0
		.amdhsa_exception_fp_ieee_inexact 0
		.amdhsa_exception_int_div_zero 0
	.end_amdhsa_kernel
	.section	.text._Z20BlockPrefixSumKernelILi512ELi2ELN6hipcub16HIPCUB_304000_NS18BlockScanAlgorithmE1EEvPKiPi,"axG",@progbits,_Z20BlockPrefixSumKernelILi512ELi2ELN6hipcub16HIPCUB_304000_NS18BlockScanAlgorithmE1EEvPKiPi,comdat
.Lfunc_end1:
	.size	_Z20BlockPrefixSumKernelILi512ELi2ELN6hipcub16HIPCUB_304000_NS18BlockScanAlgorithmE1EEvPKiPi, .Lfunc_end1-_Z20BlockPrefixSumKernelILi512ELi2ELN6hipcub16HIPCUB_304000_NS18BlockScanAlgorithmE1EEvPKiPi
                                        ; -- End function
	.section	.AMDGPU.csdata,"",@progbits
; Kernel info:
; codeLenInByte = 1136
; NumSgprs: 6
; NumVgprs: 23
; ScratchSize: 0
; MemoryBound: 0
; FloatMode: 240
; IeeeMode: 1
; LDSByteSize: 4224 bytes/workgroup (compile time only)
; SGPRBlocks: 0
; VGPRBlocks: 2
; NumSGPRsForWavesPerEU: 6
; NumVGPRsForWavesPerEU: 23
; Occupancy: 16
; WaveLimiterHint : 1
; COMPUTE_PGM_RSRC2:SCRATCH_EN: 0
; COMPUTE_PGM_RSRC2:USER_SGPR: 15
; COMPUTE_PGM_RSRC2:TRAP_HANDLER: 0
; COMPUTE_PGM_RSRC2:TGID_X_EN: 1
; COMPUTE_PGM_RSRC2:TGID_Y_EN: 0
; COMPUTE_PGM_RSRC2:TGID_Z_EN: 0
; COMPUTE_PGM_RSRC2:TIDIG_COMP_CNT: 0
	.section	.text._Z20BlockPrefixSumKernelILi256ELi4ELN6hipcub16HIPCUB_304000_NS18BlockScanAlgorithmE1EEvPKiPi,"axG",@progbits,_Z20BlockPrefixSumKernelILi256ELi4ELN6hipcub16HIPCUB_304000_NS18BlockScanAlgorithmE1EEvPKiPi,comdat
	.protected	_Z20BlockPrefixSumKernelILi256ELi4ELN6hipcub16HIPCUB_304000_NS18BlockScanAlgorithmE1EEvPKiPi ; -- Begin function _Z20BlockPrefixSumKernelILi256ELi4ELN6hipcub16HIPCUB_304000_NS18BlockScanAlgorithmE1EEvPKiPi
	.globl	_Z20BlockPrefixSumKernelILi256ELi4ELN6hipcub16HIPCUB_304000_NS18BlockScanAlgorithmE1EEvPKiPi
	.p2align	8
	.type	_Z20BlockPrefixSumKernelILi256ELi4ELN6hipcub16HIPCUB_304000_NS18BlockScanAlgorithmE1EEvPKiPi,@function
_Z20BlockPrefixSumKernelILi256ELi4ELN6hipcub16HIPCUB_304000_NS18BlockScanAlgorithmE1EEvPKiPi: ; @_Z20BlockPrefixSumKernelILi256ELi4ELN6hipcub16HIPCUB_304000_NS18BlockScanAlgorithmE1EEvPKiPi
; %bb.0:
	s_load_b128 s[0:3], s[0:1], 0x0
	v_lshlrev_b32_e32 v1, 2, v0
	v_mbcnt_lo_u32_b32 v12, -1, 0
	s_delay_alu instid0(VALU_DEP_2) | instskip(NEXT) | instid1(VALU_DEP_2)
	v_and_b32_e32 v3, 0xf80, v1
	v_lshlrev_b32_e32 v5, 2, v12
	v_and_or_b32 v7, 0x3e0, v0, v12
	s_delay_alu instid0(VALU_DEP_3) | instskip(NEXT) | instid1(VALU_DEP_2)
	v_lshlrev_b32_e32 v6, 2, v3
	v_lshlrev_b32_e32 v11, 2, v7
	v_bfe_u32 v18, v7, 3, 27
	s_delay_alu instid0(VALU_DEP_1) | instskip(SKIP_2) | instid1(VALU_DEP_1)
	v_add_lshl_u32 v11, v18, v11, 2
	s_waitcnt lgkmcnt(0)
	v_add_co_u32 v1, s0, s0, v5
	v_add_co_ci_u32_e64 v2, null, s1, 0, s0
	s_mov_b32 s0, exec_lo
	s_delay_alu instid0(VALU_DEP_2) | instskip(NEXT) | instid1(VALU_DEP_2)
	v_add_co_u32 v1, vcc_lo, v1, v6
	v_add_co_ci_u32_e32 v2, vcc_lo, 0, v2, vcc_lo
	s_clause 0x3
	global_load_b32 v4, v[1:2], off
	global_load_b32 v13, v[1:2], off offset:128
	global_load_b32 v14, v[1:2], off offset:256
	;; [unrolled: 1-line block ×3, first 2 shown]
	v_or_b32_e32 v2, v12, v3
	v_lshrrev_b32_e32 v3, 5, v3
	s_delay_alu instid0(VALU_DEP_2) | instskip(SKIP_2) | instid1(VALU_DEP_4)
	v_or_b32_e32 v8, 32, v2
	v_or_b32_e32 v9, 64, v2
	;; [unrolled: 1-line block ×3, first 2 shown]
	v_add_lshl_u32 v7, v3, v2, 2
	s_delay_alu instid0(VALU_DEP_4) | instskip(NEXT) | instid1(VALU_DEP_4)
	v_lshrrev_b32_e32 v15, 5, v8
	v_lshrrev_b32_e32 v16, 5, v9
	s_delay_alu instid0(VALU_DEP_4) | instskip(NEXT) | instid1(VALU_DEP_3)
	v_lshrrev_b32_e32 v17, 5, v10
	v_add_lshl_u32 v8, v15, v8, 2
	s_delay_alu instid0(VALU_DEP_3) | instskip(NEXT) | instid1(VALU_DEP_3)
	v_add_lshl_u32 v9, v16, v9, 2
	v_add_lshl_u32 v10, v17, v10, 2
	s_waitcnt vmcnt(3)
	ds_store_b32 v7, v4
	s_waitcnt vmcnt(2)
	ds_store_b32 v8, v13
	;; [unrolled: 2-line block ×4, first 2 shown]
	; wave barrier
	ds_load_2addr_b32 v[3:4], v11 offset1:1
	ds_load_2addr_b32 v[1:2], v11 offset0:2 offset1:3
	v_lshrrev_b32_e32 v13, 5, v0
	s_waitcnt lgkmcnt(0)
	s_barrier
	buffer_gl0_inv
	v_add_lshl_u32 v13, v13, v0, 2
	v_add_nc_u32_e32 v14, v4, v3
	s_delay_alu instid0(VALU_DEP_1)
	v_add3_u32 v2, v14, v1, v2
	ds_store_b32 v13, v2
	s_waitcnt lgkmcnt(0)
	s_barrier
	buffer_gl0_inv
	v_cmpx_gt_u32_e32 32, v0
	s_cbranch_execz .LBB2_2
; %bb.1:
	v_and_b32_e32 v13, 0x3fc, v0
	s_delay_alu instid0(VALU_DEP_1)
	v_lshl_or_b32 v21, v0, 5, v13
	ds_load_2addr_b32 v[13:14], v21 offset1:1
	ds_load_2addr_b32 v[15:16], v21 offset0:2 offset1:3
	ds_load_2addr_b32 v[17:18], v21 offset0:4 offset1:5
	;; [unrolled: 1-line block ×3, first 2 shown]
	; wave barrier
	s_waitcnt lgkmcnt(3)
	v_add_nc_u32_e32 v14, v14, v13
	s_waitcnt lgkmcnt(2)
	s_delay_alu instid0(VALU_DEP_1) | instskip(SKIP_2) | instid1(VALU_DEP_2)
	v_add3_u32 v14, v14, v15, v16
	v_and_b32_e32 v15, 15, v12
	s_waitcnt lgkmcnt(1)
	v_add3_u32 v14, v14, v17, v18
	s_delay_alu instid0(VALU_DEP_2) | instskip(SKIP_2) | instid1(VALU_DEP_3)
	v_cmp_ne_u32_e32 vcc_lo, 0, v15
	v_bfe_i32 v17, v12, 4, 1
	s_waitcnt lgkmcnt(0)
	v_add3_u32 v14, v14, v19, v20
	s_delay_alu instid0(VALU_DEP_1) | instskip(NEXT) | instid1(VALU_DEP_1)
	v_mov_b32_dpp v16, v14 row_shr:1 row_mask:0xf bank_mask:0xf
	v_cndmask_b32_e32 v16, 0, v16, vcc_lo
	v_cmp_lt_u32_e32 vcc_lo, 1, v15
	s_delay_alu instid0(VALU_DEP_2) | instskip(NEXT) | instid1(VALU_DEP_1)
	v_add_nc_u32_e32 v14, v16, v14
	v_mov_b32_dpp v16, v14 row_shr:2 row_mask:0xf bank_mask:0xf
	s_delay_alu instid0(VALU_DEP_1) | instskip(SKIP_1) | instid1(VALU_DEP_2)
	v_cndmask_b32_e32 v16, 0, v16, vcc_lo
	v_cmp_lt_u32_e32 vcc_lo, 3, v15
	v_add_nc_u32_e32 v14, v14, v16
	s_delay_alu instid0(VALU_DEP_1) | instskip(NEXT) | instid1(VALU_DEP_1)
	v_mov_b32_dpp v16, v14 row_shr:4 row_mask:0xf bank_mask:0xf
	v_cndmask_b32_e32 v16, 0, v16, vcc_lo
	v_cmp_lt_u32_e32 vcc_lo, 7, v15
	s_delay_alu instid0(VALU_DEP_2) | instskip(NEXT) | instid1(VALU_DEP_1)
	v_add_nc_u32_e32 v14, v14, v16
	v_mov_b32_dpp v16, v14 row_shr:8 row_mask:0xf bank_mask:0xf
	s_delay_alu instid0(VALU_DEP_1) | instskip(SKIP_1) | instid1(VALU_DEP_2)
	v_cndmask_b32_e32 v15, 0, v16, vcc_lo
	v_add_nc_u32_e32 v16, -1, v12
	v_add_nc_u32_e32 v14, v14, v15
	s_delay_alu instid0(VALU_DEP_2) | instskip(SKIP_3) | instid1(VALU_DEP_2)
	v_cmp_gt_i32_e32 vcc_lo, 0, v16
	ds_swizzle_b32 v15, v14 offset:swizzle(BROADCAST,32,15)
	v_cndmask_b32_e32 v12, v16, v12, vcc_lo
	v_cmp_eq_u32_e32 vcc_lo, 0, v0
	v_lshlrev_b32_e32 v12, 2, v12
	s_waitcnt lgkmcnt(0)
	v_and_b32_e32 v15, v17, v15
	s_delay_alu instid0(VALU_DEP_1) | instskip(SKIP_3) | instid1(VALU_DEP_1)
	v_add_nc_u32_e32 v14, v14, v15
	ds_bpermute_b32 v12, v12, v14
	s_waitcnt lgkmcnt(0)
	v_add_nc_u32_e32 v12, v12, v13
	v_cndmask_b32_e32 v2, v12, v2, vcc_lo
	ds_store_b32 v21, v2
	; wave barrier
	ds_load_2addr_b32 v[12:13], v21 offset0:1 offset1:2
	ds_load_2addr_b32 v[14:15], v21 offset0:3 offset1:4
	;; [unrolled: 1-line block ×3, first 2 shown]
	ds_load_b32 v18, v21 offset:28
	s_waitcnt lgkmcnt(3)
	v_add_nc_u32_e32 v2, v12, v2
	s_delay_alu instid0(VALU_DEP_1) | instskip(SKIP_1) | instid1(VALU_DEP_1)
	v_add_nc_u32_e32 v12, v13, v2
	s_waitcnt lgkmcnt(2)
	v_add_nc_u32_e32 v13, v14, v12
	s_delay_alu instid0(VALU_DEP_1) | instskip(SKIP_1) | instid1(VALU_DEP_1)
	v_add_nc_u32_e32 v14, v15, v13
	;; [unrolled: 4-line block ×3, first 2 shown]
	s_waitcnt lgkmcnt(0)
	v_add_nc_u32_e32 v17, v18, v16
	ds_store_2addr_b32 v21, v2, v12 offset0:1 offset1:2
	ds_store_2addr_b32 v21, v13, v14 offset0:3 offset1:4
	;; [unrolled: 1-line block ×3, first 2 shown]
	ds_store_b32 v21, v17 offset:28
.LBB2_2:
	s_or_b32 exec_lo, exec_lo, s0
	v_cmp_eq_u32_e32 vcc_lo, 0, v0
	v_mov_b32_e32 v2, 0
	v_mov_b32_e32 v12, 0
	s_mov_b32 s1, exec_lo
	s_waitcnt lgkmcnt(0)
	s_barrier
	buffer_gl0_inv
	v_cmpx_ne_u32_e32 0, v0
	s_cbranch_execz .LBB2_4
; %bb.3:
	v_add_nc_u32_e32 v0, -1, v0
	s_delay_alu instid0(VALU_DEP_1) | instskip(NEXT) | instid1(VALU_DEP_1)
	v_lshrrev_b32_e32 v12, 5, v0
	v_add_lshl_u32 v0, v12, v0, 2
	ds_load_b32 v12, v0
.LBB2_4:
	s_or_b32 exec_lo, exec_lo, s1
	s_waitcnt lgkmcnt(0)
	v_add_nc_u32_e32 v3, v12, v3
	ds_load_b32 v0, v2 offset:1048
	s_waitcnt lgkmcnt(0)
	s_barrier
	buffer_gl0_inv
	v_add_nc_u32_e32 v4, v3, v4
	s_delay_alu instid0(VALU_DEP_1)
	v_add_nc_u32_e32 v1, v4, v1
	ds_store_2addr_b32 v11, v12, v3 offset1:1
	ds_store_2addr_b32 v11, v4, v1 offset0:2 offset1:3
	; wave barrier
	ds_load_b32 v3, v7
	ds_load_b32 v4, v8
	;; [unrolled: 1-line block ×4, first 2 shown]
	v_add_co_u32 v1, s0, s2, v5
	s_delay_alu instid0(VALU_DEP_1) | instskip(NEXT) | instid1(VALU_DEP_2)
	v_add_co_ci_u32_e64 v2, null, s3, 0, s0
	v_add_co_u32 v1, s0, v1, v6
	s_delay_alu instid0(VALU_DEP_1)
	v_add_co_ci_u32_e64 v2, s0, 0, v2, s0
	s_waitcnt lgkmcnt(3)
	global_store_b32 v[1:2], v3, off
	s_waitcnt lgkmcnt(2)
	global_store_b32 v[1:2], v4, off offset:128
	s_waitcnt lgkmcnt(1)
	global_store_b32 v[1:2], v7, off offset:256
	;; [unrolled: 2-line block ×3, first 2 shown]
	s_and_saveexec_b32 s0, vcc_lo
	s_cbranch_execz .LBB2_6
; %bb.5:
	v_mov_b32_e32 v1, 0x1000
	global_store_b32 v1, v0, s[2:3]
.LBB2_6:
	s_nop 0
	s_sendmsg sendmsg(MSG_DEALLOC_VGPRS)
	s_endpgm
	.section	.rodata,"a",@progbits
	.p2align	6, 0x0
	.amdhsa_kernel _Z20BlockPrefixSumKernelILi256ELi4ELN6hipcub16HIPCUB_304000_NS18BlockScanAlgorithmE1EEvPKiPi
		.amdhsa_group_segment_fixed_size 4224
		.amdhsa_private_segment_fixed_size 0
		.amdhsa_kernarg_size 16
		.amdhsa_user_sgpr_count 15
		.amdhsa_user_sgpr_dispatch_ptr 0
		.amdhsa_user_sgpr_queue_ptr 0
		.amdhsa_user_sgpr_kernarg_segment_ptr 1
		.amdhsa_user_sgpr_dispatch_id 0
		.amdhsa_user_sgpr_private_segment_size 0
		.amdhsa_wavefront_size32 1
		.amdhsa_uses_dynamic_stack 0
		.amdhsa_enable_private_segment 0
		.amdhsa_system_sgpr_workgroup_id_x 1
		.amdhsa_system_sgpr_workgroup_id_y 0
		.amdhsa_system_sgpr_workgroup_id_z 0
		.amdhsa_system_sgpr_workgroup_info 0
		.amdhsa_system_vgpr_workitem_id 0
		.amdhsa_next_free_vgpr 22
		.amdhsa_next_free_sgpr 4
		.amdhsa_reserve_vcc 1
		.amdhsa_float_round_mode_32 0
		.amdhsa_float_round_mode_16_64 0
		.amdhsa_float_denorm_mode_32 3
		.amdhsa_float_denorm_mode_16_64 3
		.amdhsa_dx10_clamp 1
		.amdhsa_ieee_mode 1
		.amdhsa_fp16_overflow 0
		.amdhsa_workgroup_processor_mode 1
		.amdhsa_memory_ordered 1
		.amdhsa_forward_progress 0
		.amdhsa_shared_vgpr_count 0
		.amdhsa_exception_fp_ieee_invalid_op 0
		.amdhsa_exception_fp_denorm_src 0
		.amdhsa_exception_fp_ieee_div_zero 0
		.amdhsa_exception_fp_ieee_overflow 0
		.amdhsa_exception_fp_ieee_underflow 0
		.amdhsa_exception_fp_ieee_inexact 0
		.amdhsa_exception_int_div_zero 0
	.end_amdhsa_kernel
	.section	.text._Z20BlockPrefixSumKernelILi256ELi4ELN6hipcub16HIPCUB_304000_NS18BlockScanAlgorithmE1EEvPKiPi,"axG",@progbits,_Z20BlockPrefixSumKernelILi256ELi4ELN6hipcub16HIPCUB_304000_NS18BlockScanAlgorithmE1EEvPKiPi,comdat
.Lfunc_end2:
	.size	_Z20BlockPrefixSumKernelILi256ELi4ELN6hipcub16HIPCUB_304000_NS18BlockScanAlgorithmE1EEvPKiPi, .Lfunc_end2-_Z20BlockPrefixSumKernelILi256ELi4ELN6hipcub16HIPCUB_304000_NS18BlockScanAlgorithmE1EEvPKiPi
                                        ; -- End function
	.section	.AMDGPU.csdata,"",@progbits
; Kernel info:
; codeLenInByte = 1088
; NumSgprs: 6
; NumVgprs: 22
; ScratchSize: 0
; MemoryBound: 0
; FloatMode: 240
; IeeeMode: 1
; LDSByteSize: 4224 bytes/workgroup (compile time only)
; SGPRBlocks: 0
; VGPRBlocks: 2
; NumSGPRsForWavesPerEU: 6
; NumVGPRsForWavesPerEU: 22
; Occupancy: 16
; WaveLimiterHint : 1
; COMPUTE_PGM_RSRC2:SCRATCH_EN: 0
; COMPUTE_PGM_RSRC2:USER_SGPR: 15
; COMPUTE_PGM_RSRC2:TRAP_HANDLER: 0
; COMPUTE_PGM_RSRC2:TGID_X_EN: 1
; COMPUTE_PGM_RSRC2:TGID_Y_EN: 0
; COMPUTE_PGM_RSRC2:TGID_Z_EN: 0
; COMPUTE_PGM_RSRC2:TIDIG_COMP_CNT: 0
	.section	.text._Z20BlockPrefixSumKernelILi128ELi8ELN6hipcub16HIPCUB_304000_NS18BlockScanAlgorithmE1EEvPKiPi,"axG",@progbits,_Z20BlockPrefixSumKernelILi128ELi8ELN6hipcub16HIPCUB_304000_NS18BlockScanAlgorithmE1EEvPKiPi,comdat
	.protected	_Z20BlockPrefixSumKernelILi128ELi8ELN6hipcub16HIPCUB_304000_NS18BlockScanAlgorithmE1EEvPKiPi ; -- Begin function _Z20BlockPrefixSumKernelILi128ELi8ELN6hipcub16HIPCUB_304000_NS18BlockScanAlgorithmE1EEvPKiPi
	.globl	_Z20BlockPrefixSumKernelILi128ELi8ELN6hipcub16HIPCUB_304000_NS18BlockScanAlgorithmE1EEvPKiPi
	.p2align	8
	.type	_Z20BlockPrefixSumKernelILi128ELi8ELN6hipcub16HIPCUB_304000_NS18BlockScanAlgorithmE1EEvPKiPi,@function
_Z20BlockPrefixSumKernelILi128ELi8ELN6hipcub16HIPCUB_304000_NS18BlockScanAlgorithmE1EEvPKiPi: ; @_Z20BlockPrefixSumKernelILi128ELi8ELN6hipcub16HIPCUB_304000_NS18BlockScanAlgorithmE1EEvPKiPi
; %bb.0:
	s_load_b128 s[0:3], s[0:1], 0x0
	v_lshlrev_b32_e32 v1, 3, v0
	v_mbcnt_lo_u32_b32 v13, -1, 0
	s_delay_alu instid0(VALU_DEP_2) | instskip(NEXT) | instid1(VALU_DEP_2)
	v_and_b32_e32 v3, 0x1f00, v1
	v_lshlrev_b32_e32 v9, 2, v13
	s_delay_alu instid0(VALU_DEP_2) | instskip(SKIP_2) | instid1(VALU_DEP_2)
	v_lshlrev_b32_e32 v10, 2, v3
	v_or_b32_e32 v14, v13, v3
	v_lshrrev_b32_e32 v3, 5, v3
	v_or_b32_e32 v16, 0x60, v14
	v_or_b32_e32 v17, 0x80, v14
	;; [unrolled: 1-line block ×3, first 2 shown]
	s_waitcnt lgkmcnt(0)
	v_add_co_u32 v1, s0, s0, v9
	s_delay_alu instid0(VALU_DEP_1) | instskip(SKIP_1) | instid1(VALU_DEP_3)
	v_add_co_ci_u32_e64 v2, null, s1, 0, s0
	v_or_b32_e32 v19, 0xc0, v14
	v_add_co_u32 v1, vcc_lo, v1, v10
	s_delay_alu instid0(VALU_DEP_3)
	v_add_co_ci_u32_e32 v2, vcc_lo, 0, v2, vcc_lo
	v_or_b32_e32 v20, 0xe0, v14
	v_lshrrev_b32_e32 v23, 5, v16
	v_lshrrev_b32_e32 v24, 5, v17
	s_clause 0x7
	global_load_b32 v4, v[1:2], off
	global_load_b32 v5, v[1:2], off offset:128
	global_load_b32 v6, v[1:2], off offset:256
	;; [unrolled: 1-line block ×7, first 2 shown]
	v_and_or_b32 v2, 0x3e0, v0, v13
	v_lshrrev_b32_e32 v25, 5, v18
	v_lshrrev_b32_e32 v26, 5, v19
	;; [unrolled: 1-line block ×3, first 2 shown]
	v_add_lshl_u32 v16, v23, v16, 2
	v_lshlrev_b32_e32 v11, 3, v2
	v_bfe_u32 v2, v2, 2, 27
	v_add_lshl_u32 v17, v24, v17, 2
	v_add_lshl_u32 v18, v25, v18, 2
	;; [unrolled: 1-line block ×5, first 2 shown]
	v_or_b32_e32 v2, 32, v14
	v_add_lshl_u32 v11, v3, v14, 2
	v_or_b32_e32 v3, 64, v14
	s_mov_b32 s0, exec_lo
	s_delay_alu instid0(VALU_DEP_3) | instskip(NEXT) | instid1(VALU_DEP_2)
	v_lshrrev_b32_e32 v14, 5, v2
	v_lshrrev_b32_e32 v15, 5, v3
	s_delay_alu instid0(VALU_DEP_2) | instskip(NEXT) | instid1(VALU_DEP_2)
	v_add_lshl_u32 v14, v14, v2, 2
	v_add_lshl_u32 v15, v15, v3, 2
	s_waitcnt vmcnt(7)
	ds_store_b32 v11, v4
	s_waitcnt vmcnt(6)
	ds_store_b32 v14, v5
	;; [unrolled: 2-line block ×8, first 2 shown]
	; wave barrier
	ds_load_2addr_b32 v[7:8], v12 offset1:1
	ds_load_2addr_b32 v[5:6], v12 offset0:2 offset1:3
	ds_load_2addr_b32 v[3:4], v12 offset0:4 offset1:5
	;; [unrolled: 1-line block ×3, first 2 shown]
	v_lshrrev_b32_e32 v22, 5, v0
	s_waitcnt lgkmcnt(0)
	s_barrier
	buffer_gl0_inv
	v_add_lshl_u32 v22, v22, v0, 2
	v_add_nc_u32_e32 v21, v8, v7
	s_delay_alu instid0(VALU_DEP_1) | instskip(NEXT) | instid1(VALU_DEP_1)
	v_add3_u32 v21, v21, v5, v6
	v_add3_u32 v21, v21, v3, v4
	s_delay_alu instid0(VALU_DEP_1)
	v_add3_u32 v2, v21, v1, v2
	ds_store_b32 v22, v2
	s_waitcnt lgkmcnt(0)
	s_barrier
	buffer_gl0_inv
	v_cmpx_gt_u32_e32 32, v0
	s_cbranch_execz .LBB3_2
; %bb.1:
	v_lshrrev_b32_e32 v21, 1, v0
	v_bfe_i32 v26, v13, 4, 1
	s_delay_alu instid0(VALU_DEP_2) | instskip(NEXT) | instid1(VALU_DEP_1)
	v_and_b32_e32 v21, 0x1fc, v21
	v_lshl_or_b32 v25, v0, 4, v21
	ds_load_2addr_b32 v[21:22], v25 offset1:1
	ds_load_2addr_b32 v[23:24], v25 offset0:2 offset1:3
	; wave barrier
	s_waitcnt lgkmcnt(1)
	v_add_nc_u32_e32 v22, v22, v21
	s_waitcnt lgkmcnt(0)
	s_delay_alu instid0(VALU_DEP_1) | instskip(SKIP_1) | instid1(VALU_DEP_2)
	v_add3_u32 v22, v22, v23, v24
	v_and_b32_e32 v23, 15, v13
	v_mov_b32_dpp v24, v22 row_shr:1 row_mask:0xf bank_mask:0xf
	s_delay_alu instid0(VALU_DEP_2) | instskip(NEXT) | instid1(VALU_DEP_2)
	v_cmp_ne_u32_e32 vcc_lo, 0, v23
	v_cndmask_b32_e32 v24, 0, v24, vcc_lo
	v_cmp_lt_u32_e32 vcc_lo, 1, v23
	s_delay_alu instid0(VALU_DEP_2) | instskip(NEXT) | instid1(VALU_DEP_1)
	v_add_nc_u32_e32 v22, v24, v22
	v_mov_b32_dpp v24, v22 row_shr:2 row_mask:0xf bank_mask:0xf
	s_delay_alu instid0(VALU_DEP_1) | instskip(SKIP_1) | instid1(VALU_DEP_2)
	v_cndmask_b32_e32 v24, 0, v24, vcc_lo
	v_cmp_lt_u32_e32 vcc_lo, 3, v23
	v_add_nc_u32_e32 v22, v22, v24
	s_delay_alu instid0(VALU_DEP_1) | instskip(NEXT) | instid1(VALU_DEP_1)
	v_mov_b32_dpp v24, v22 row_shr:4 row_mask:0xf bank_mask:0xf
	v_cndmask_b32_e32 v24, 0, v24, vcc_lo
	v_cmp_lt_u32_e32 vcc_lo, 7, v23
	s_delay_alu instid0(VALU_DEP_2) | instskip(NEXT) | instid1(VALU_DEP_1)
	v_add_nc_u32_e32 v22, v22, v24
	v_mov_b32_dpp v24, v22 row_shr:8 row_mask:0xf bank_mask:0xf
	s_delay_alu instid0(VALU_DEP_1) | instskip(NEXT) | instid1(VALU_DEP_1)
	v_dual_cndmask_b32 v23, 0, v24 :: v_dual_add_nc_u32 v24, -1, v13
	v_add_nc_u32_e32 v22, v22, v23
	s_delay_alu instid0(VALU_DEP_2) | instskip(SKIP_3) | instid1(VALU_DEP_2)
	v_cmp_gt_i32_e32 vcc_lo, 0, v24
	ds_swizzle_b32 v23, v22 offset:swizzle(BROADCAST,32,15)
	v_cndmask_b32_e32 v13, v24, v13, vcc_lo
	v_cmp_eq_u32_e32 vcc_lo, 0, v0
	v_lshlrev_b32_e32 v13, 2, v13
	s_waitcnt lgkmcnt(0)
	v_and_b32_e32 v23, v26, v23
	s_delay_alu instid0(VALU_DEP_1) | instskip(SKIP_3) | instid1(VALU_DEP_1)
	v_add_nc_u32_e32 v22, v22, v23
	ds_bpermute_b32 v13, v13, v22
	s_waitcnt lgkmcnt(0)
	v_add_nc_u32_e32 v13, v13, v21
	v_cndmask_b32_e32 v2, v13, v2, vcc_lo
	ds_store_b32 v25, v2
	; wave barrier
	ds_load_2addr_b32 v[21:22], v25 offset0:1 offset1:2
	ds_load_b32 v13, v25 offset:12
	s_waitcnt lgkmcnt(1)
	v_add_nc_u32_e32 v2, v21, v2
	s_delay_alu instid0(VALU_DEP_1) | instskip(SKIP_1) | instid1(VALU_DEP_1)
	v_add_nc_u32_e32 v21, v22, v2
	s_waitcnt lgkmcnt(0)
	v_add_nc_u32_e32 v13, v13, v21
	ds_store_2addr_b32 v25, v2, v21 offset0:1 offset1:2
	ds_store_b32 v25, v13 offset:12
.LBB3_2:
	s_or_b32 exec_lo, exec_lo, s0
	v_cmp_eq_u32_e32 vcc_lo, 0, v0
	v_dual_mov_b32 v2, 0 :: v_dual_mov_b32 v13, 0
	s_mov_b32 s1, exec_lo
	s_waitcnt lgkmcnt(0)
	s_barrier
	buffer_gl0_inv
	v_cmpx_ne_u32_e32 0, v0
	s_cbranch_execz .LBB3_4
; %bb.3:
	v_add_nc_u32_e32 v0, -1, v0
	s_delay_alu instid0(VALU_DEP_1) | instskip(NEXT) | instid1(VALU_DEP_1)
	v_lshrrev_b32_e32 v13, 5, v0
	v_add_lshl_u32 v0, v13, v0, 2
	ds_load_b32 v13, v0
.LBB3_4:
	s_or_b32 exec_lo, exec_lo, s1
	s_waitcnt lgkmcnt(0)
	v_add_nc_u32_e32 v7, v13, v7
	ds_load_b32 v0, v2 offset:520
	s_waitcnt lgkmcnt(0)
	s_barrier
	buffer_gl0_inv
	v_add_nc_u32_e32 v8, v7, v8
	s_delay_alu instid0(VALU_DEP_1) | instskip(NEXT) | instid1(VALU_DEP_1)
	v_add_nc_u32_e32 v5, v8, v5
	v_add_nc_u32_e32 v6, v5, v6
	s_delay_alu instid0(VALU_DEP_1) | instskip(NEXT) | instid1(VALU_DEP_1)
	v_add_nc_u32_e32 v3, v6, v3
	v_add_nc_u32_e32 v4, v3, v4
	s_delay_alu instid0(VALU_DEP_1)
	v_add_nc_u32_e32 v1, v4, v1
	ds_store_2addr_b32 v12, v13, v7 offset1:1
	ds_store_2addr_b32 v12, v8, v5 offset0:2 offset1:3
	ds_store_2addr_b32 v12, v6, v3 offset0:4 offset1:5
	;; [unrolled: 1-line block ×3, first 2 shown]
	; wave barrier
	ds_load_b32 v3, v11
	ds_load_b32 v4, v14
	;; [unrolled: 1-line block ×8, first 2 shown]
	v_add_co_u32 v1, s0, s2, v9
	s_delay_alu instid0(VALU_DEP_1) | instskip(NEXT) | instid1(VALU_DEP_2)
	v_add_co_ci_u32_e64 v2, null, s3, 0, s0
	v_add_co_u32 v1, s0, v1, v10
	s_delay_alu instid0(VALU_DEP_1)
	v_add_co_ci_u32_e64 v2, s0, 0, v2, s0
	s_waitcnt lgkmcnt(7)
	global_store_b32 v[1:2], v3, off
	s_waitcnt lgkmcnt(6)
	global_store_b32 v[1:2], v4, off offset:128
	s_waitcnt lgkmcnt(5)
	global_store_b32 v[1:2], v5, off offset:256
	;; [unrolled: 2-line block ×7, first 2 shown]
	s_and_saveexec_b32 s0, vcc_lo
	s_cbranch_execz .LBB3_6
; %bb.5:
	v_mov_b32_e32 v1, 0x1000
	global_store_b32 v1, v0, s[2:3]
.LBB3_6:
	s_nop 0
	s_sendmsg sendmsg(MSG_DEALLOC_VGPRS)
	s_endpgm
	.section	.rodata,"a",@progbits
	.p2align	6, 0x0
	.amdhsa_kernel _Z20BlockPrefixSumKernelILi128ELi8ELN6hipcub16HIPCUB_304000_NS18BlockScanAlgorithmE1EEvPKiPi
		.amdhsa_group_segment_fixed_size 4224
		.amdhsa_private_segment_fixed_size 0
		.amdhsa_kernarg_size 16
		.amdhsa_user_sgpr_count 15
		.amdhsa_user_sgpr_dispatch_ptr 0
		.amdhsa_user_sgpr_queue_ptr 0
		.amdhsa_user_sgpr_kernarg_segment_ptr 1
		.amdhsa_user_sgpr_dispatch_id 0
		.amdhsa_user_sgpr_private_segment_size 0
		.amdhsa_wavefront_size32 1
		.amdhsa_uses_dynamic_stack 0
		.amdhsa_enable_private_segment 0
		.amdhsa_system_sgpr_workgroup_id_x 1
		.amdhsa_system_sgpr_workgroup_id_y 0
		.amdhsa_system_sgpr_workgroup_id_z 0
		.amdhsa_system_sgpr_workgroup_info 0
		.amdhsa_system_vgpr_workitem_id 0
		.amdhsa_next_free_vgpr 28
		.amdhsa_next_free_sgpr 4
		.amdhsa_reserve_vcc 1
		.amdhsa_float_round_mode_32 0
		.amdhsa_float_round_mode_16_64 0
		.amdhsa_float_denorm_mode_32 3
		.amdhsa_float_denorm_mode_16_64 3
		.amdhsa_dx10_clamp 1
		.amdhsa_ieee_mode 1
		.amdhsa_fp16_overflow 0
		.amdhsa_workgroup_processor_mode 1
		.amdhsa_memory_ordered 1
		.amdhsa_forward_progress 0
		.amdhsa_shared_vgpr_count 0
		.amdhsa_exception_fp_ieee_invalid_op 0
		.amdhsa_exception_fp_denorm_src 0
		.amdhsa_exception_fp_ieee_div_zero 0
		.amdhsa_exception_fp_ieee_overflow 0
		.amdhsa_exception_fp_ieee_underflow 0
		.amdhsa_exception_fp_ieee_inexact 0
		.amdhsa_exception_int_div_zero 0
	.end_amdhsa_kernel
	.section	.text._Z20BlockPrefixSumKernelILi128ELi8ELN6hipcub16HIPCUB_304000_NS18BlockScanAlgorithmE1EEvPKiPi,"axG",@progbits,_Z20BlockPrefixSumKernelILi128ELi8ELN6hipcub16HIPCUB_304000_NS18BlockScanAlgorithmE1EEvPKiPi,comdat
.Lfunc_end3:
	.size	_Z20BlockPrefixSumKernelILi128ELi8ELN6hipcub16HIPCUB_304000_NS18BlockScanAlgorithmE1EEvPKiPi, .Lfunc_end3-_Z20BlockPrefixSumKernelILi128ELi8ELN6hipcub16HIPCUB_304000_NS18BlockScanAlgorithmE1EEvPKiPi
                                        ; -- End function
	.section	.AMDGPU.csdata,"",@progbits
; Kernel info:
; codeLenInByte = 1292
; NumSgprs: 6
; NumVgprs: 28
; ScratchSize: 0
; MemoryBound: 0
; FloatMode: 240
; IeeeMode: 1
; LDSByteSize: 4224 bytes/workgroup (compile time only)
; SGPRBlocks: 0
; VGPRBlocks: 3
; NumSGPRsForWavesPerEU: 6
; NumVGPRsForWavesPerEU: 28
; Occupancy: 16
; WaveLimiterHint : 1
; COMPUTE_PGM_RSRC2:SCRATCH_EN: 0
; COMPUTE_PGM_RSRC2:USER_SGPR: 15
; COMPUTE_PGM_RSRC2:TRAP_HANDLER: 0
; COMPUTE_PGM_RSRC2:TGID_X_EN: 1
; COMPUTE_PGM_RSRC2:TGID_Y_EN: 0
; COMPUTE_PGM_RSRC2:TGID_Z_EN: 0
; COMPUTE_PGM_RSRC2:TIDIG_COMP_CNT: 0
	.section	.text._Z20BlockPrefixSumKernelILi64ELi16ELN6hipcub16HIPCUB_304000_NS18BlockScanAlgorithmE1EEvPKiPi,"axG",@progbits,_Z20BlockPrefixSumKernelILi64ELi16ELN6hipcub16HIPCUB_304000_NS18BlockScanAlgorithmE1EEvPKiPi,comdat
	.protected	_Z20BlockPrefixSumKernelILi64ELi16ELN6hipcub16HIPCUB_304000_NS18BlockScanAlgorithmE1EEvPKiPi ; -- Begin function _Z20BlockPrefixSumKernelILi64ELi16ELN6hipcub16HIPCUB_304000_NS18BlockScanAlgorithmE1EEvPKiPi
	.globl	_Z20BlockPrefixSumKernelILi64ELi16ELN6hipcub16HIPCUB_304000_NS18BlockScanAlgorithmE1EEvPKiPi
	.p2align	8
	.type	_Z20BlockPrefixSumKernelILi64ELi16ELN6hipcub16HIPCUB_304000_NS18BlockScanAlgorithmE1EEvPKiPi,@function
_Z20BlockPrefixSumKernelILi64ELi16ELN6hipcub16HIPCUB_304000_NS18BlockScanAlgorithmE1EEvPKiPi: ; @_Z20BlockPrefixSumKernelILi64ELi16ELN6hipcub16HIPCUB_304000_NS18BlockScanAlgorithmE1EEvPKiPi
; %bb.0:
	s_load_b128 s[0:3], s[0:1], 0x0
	v_lshlrev_b32_e32 v1, 4, v0
	v_mbcnt_lo_u32_b32 v21, -1, 0
	s_delay_alu instid0(VALU_DEP_2) | instskip(NEXT) | instid1(VALU_DEP_2)
	v_and_b32_e32 v3, 0x3e00, v1
	v_lshlrev_b32_e32 v18, 2, v21
	s_delay_alu instid0(VALU_DEP_2) | instskip(SKIP_2) | instid1(VALU_DEP_2)
	v_lshlrev_b32_e32 v17, 2, v3
	v_or_b32_e32 v22, v21, v3
	v_lshrrev_b32_e32 v3, 5, v3
	v_or_b32_e32 v24, 0x60, v22
	v_or_b32_e32 v25, 0x80, v22
	;; [unrolled: 1-line block ×3, first 2 shown]
	s_waitcnt lgkmcnt(0)
	v_add_co_u32 v1, s0, s0, v18
	s_delay_alu instid0(VALU_DEP_1) | instskip(SKIP_1) | instid1(VALU_DEP_3)
	v_add_co_ci_u32_e64 v2, null, s1, 0, s0
	v_or_b32_e32 v27, 0xc0, v22
	v_add_co_u32 v1, vcc_lo, v1, v17
	s_delay_alu instid0(VALU_DEP_3)
	v_add_co_ci_u32_e32 v2, vcc_lo, 0, v2, vcc_lo
	v_or_b32_e32 v28, 0xe0, v22
	v_or_b32_e32 v29, 0x100, v22
	;; [unrolled: 1-line block ×3, first 2 shown]
	s_clause 0xf
	global_load_b32 v4, v[1:2], off
	global_load_b32 v5, v[1:2], off offset:128
	global_load_b32 v6, v[1:2], off offset:256
	;; [unrolled: 1-line block ×15, first 2 shown]
	v_and_or_b32 v2, 0x3e0, v0, v21
	v_or_b32_e32 v31, 0x140, v22
	v_or_b32_e32 v32, 0x160, v22
	;; [unrolled: 1-line block ×4, first 2 shown]
	v_lshlrev_b32_e32 v19, 4, v2
	v_bfe_u32 v2, v2, 1, 27
	v_or_b32_e32 v35, 0x1c0, v22
	v_or_b32_e32 v36, 0x1e0, v22
	v_lshrrev_b32_e32 v39, 5, v24
	v_lshrrev_b32_e32 v40, 5, v25
	v_add_lshl_u32 v20, v2, v19, 2
	v_or_b32_e32 v2, 32, v22
	v_add_lshl_u32 v19, v3, v22, 2
	v_or_b32_e32 v3, 64, v22
	v_lshrrev_b32_e32 v41, 5, v26
	v_lshrrev_b32_e32 v42, 5, v27
	;; [unrolled: 1-line block ×13, first 2 shown]
	v_add_lshl_u32 v22, v22, v2, 2
	v_add_lshl_u32 v23, v23, v3, 2
	;; [unrolled: 1-line block ×15, first 2 shown]
	s_mov_b32 s0, exec_lo
	s_waitcnt vmcnt(15)
	ds_store_b32 v19, v4
	s_waitcnt vmcnt(14)
	ds_store_b32 v22, v5
	;; [unrolled: 2-line block ×16, first 2 shown]
	; wave barrier
	ds_load_2addr_b32 v[11:12], v20 offset1:1
	ds_load_2addr_b32 v[9:10], v20 offset0:2 offset1:3
	ds_load_2addr_b32 v[5:6], v20 offset0:4 offset1:5
	;; [unrolled: 1-line block ×5, first 2 shown]
	v_lshrrev_b32_e32 v38, 5, v0
	s_delay_alu instid0(VALU_DEP_1) | instskip(SKIP_3) | instid1(VALU_DEP_1)
	v_add_lshl_u32 v38, v38, v0, 2
	s_waitcnt lgkmcnt(5)
	v_add_nc_u32_e32 v1, v12, v11
	s_waitcnt lgkmcnt(4)
	v_add3_u32 v1, v1, v9, v10
	s_waitcnt lgkmcnt(3)
	s_delay_alu instid0(VALU_DEP_1)
	v_add3_u32 v37, v1, v5, v6
	ds_load_2addr_b32 v[7:8], v20 offset0:12 offset1:13
	ds_load_2addr_b32 v[1:2], v20 offset0:14 offset1:15
	s_waitcnt lgkmcnt(0)
	s_barrier
	buffer_gl0_inv
	v_add3_u32 v37, v37, v3, v4
	s_delay_alu instid0(VALU_DEP_1) | instskip(NEXT) | instid1(VALU_DEP_1)
	v_add3_u32 v37, v37, v13, v14
	v_add3_u32 v37, v37, v15, v16
	s_delay_alu instid0(VALU_DEP_1) | instskip(NEXT) | instid1(VALU_DEP_1)
	v_add3_u32 v37, v37, v7, v8
	v_add3_u32 v2, v37, v1, v2
	ds_store_b32 v38, v2
	s_waitcnt lgkmcnt(0)
	s_barrier
	buffer_gl0_inv
	v_cmpx_gt_u32_e32 32, v0
	s_cbranch_execz .LBB4_2
; %bb.1:
	v_lshrrev_b32_e32 v37, 2, v0
	v_and_b32_e32 v40, 15, v21
	v_bfe_i32 v42, v21, 4, 1
	s_delay_alu instid0(VALU_DEP_3) | instskip(NEXT) | instid1(VALU_DEP_3)
	v_and_b32_e32 v37, 0xfc, v37
	v_cmp_ne_u32_e32 vcc_lo, 0, v40
	s_delay_alu instid0(VALU_DEP_2) | instskip(SKIP_3) | instid1(VALU_DEP_1)
	v_lshl_or_b32 v39, v0, 3, v37
	ds_load_2addr_b32 v[37:38], v39 offset1:1
	; wave barrier
	s_waitcnt lgkmcnt(0)
	v_add_nc_u32_e32 v38, v38, v37
	v_mov_b32_dpp v41, v38 row_shr:1 row_mask:0xf bank_mask:0xf
	s_delay_alu instid0(VALU_DEP_1) | instskip(SKIP_1) | instid1(VALU_DEP_2)
	v_cndmask_b32_e32 v41, 0, v41, vcc_lo
	v_cmp_lt_u32_e32 vcc_lo, 1, v40
	v_add_nc_u32_e32 v38, v41, v38
	s_delay_alu instid0(VALU_DEP_1) | instskip(NEXT) | instid1(VALU_DEP_1)
	v_mov_b32_dpp v41, v38 row_shr:2 row_mask:0xf bank_mask:0xf
	v_cndmask_b32_e32 v41, 0, v41, vcc_lo
	v_cmp_lt_u32_e32 vcc_lo, 3, v40
	s_delay_alu instid0(VALU_DEP_2) | instskip(NEXT) | instid1(VALU_DEP_1)
	v_add_nc_u32_e32 v38, v38, v41
	v_mov_b32_dpp v41, v38 row_shr:4 row_mask:0xf bank_mask:0xf
	s_delay_alu instid0(VALU_DEP_1) | instskip(SKIP_1) | instid1(VALU_DEP_2)
	v_cndmask_b32_e32 v41, 0, v41, vcc_lo
	v_cmp_lt_u32_e32 vcc_lo, 7, v40
	v_add_nc_u32_e32 v38, v38, v41
	s_delay_alu instid0(VALU_DEP_1) | instskip(NEXT) | instid1(VALU_DEP_1)
	v_mov_b32_dpp v41, v38 row_shr:8 row_mask:0xf bank_mask:0xf
	v_cndmask_b32_e32 v40, 0, v41, vcc_lo
	v_add_nc_u32_e32 v41, -1, v21
	s_delay_alu instid0(VALU_DEP_2) | instskip(NEXT) | instid1(VALU_DEP_2)
	v_add_nc_u32_e32 v38, v38, v40
	v_cmp_gt_i32_e32 vcc_lo, 0, v41
	ds_swizzle_b32 v40, v38 offset:swizzle(BROADCAST,32,15)
	s_waitcnt lgkmcnt(0)
	v_dual_cndmask_b32 v21, v41, v21 :: v_dual_and_b32 v40, v42, v40
	v_cmp_eq_u32_e32 vcc_lo, 0, v0
	s_delay_alu instid0(VALU_DEP_2) | instskip(NEXT) | instid1(VALU_DEP_3)
	v_add_nc_u32_e32 v38, v38, v40
	v_lshlrev_b32_e32 v21, 2, v21
	ds_bpermute_b32 v21, v21, v38
	s_waitcnt lgkmcnt(0)
	v_add_nc_u32_e32 v21, v21, v37
	s_delay_alu instid0(VALU_DEP_1)
	v_cndmask_b32_e32 v2, v21, v2, vcc_lo
	ds_store_b32 v39, v2
	; wave barrier
	ds_load_b32 v21, v39 offset:4
	s_waitcnt lgkmcnt(0)
	v_add_nc_u32_e32 v2, v21, v2
	ds_store_b32 v39, v2 offset:4
.LBB4_2:
	s_or_b32 exec_lo, exec_lo, s0
	v_cmp_eq_u32_e32 vcc_lo, 0, v0
	v_dual_mov_b32 v21, 0 :: v_dual_mov_b32 v2, 0
	s_mov_b32 s1, exec_lo
	s_waitcnt lgkmcnt(0)
	s_barrier
	buffer_gl0_inv
	v_cmpx_ne_u32_e32 0, v0
	s_cbranch_execz .LBB4_4
; %bb.3:
	v_add_nc_u32_e32 v0, -1, v0
	s_delay_alu instid0(VALU_DEP_1) | instskip(NEXT) | instid1(VALU_DEP_1)
	v_lshrrev_b32_e32 v2, 5, v0
	v_add_lshl_u32 v0, v2, v0, 2
	ds_load_b32 v2, v0
.LBB4_4:
	s_or_b32 exec_lo, exec_lo, s1
	s_waitcnt lgkmcnt(0)
	v_add_nc_u32_e32 v11, v2, v11
	ds_load_b32 v0, v21 offset:256
	s_waitcnt lgkmcnt(0)
	s_barrier
	buffer_gl0_inv
	v_add_nc_u32_e32 v12, v11, v12
	v_add_co_u32 v18, s0, s2, v18
	s_delay_alu instid0(VALU_DEP_1) | instskip(NEXT) | instid1(VALU_DEP_3)
	v_add_co_ci_u32_e64 v21, null, s3, 0, s0
	v_add_nc_u32_e32 v9, v12, v9
	s_delay_alu instid0(VALU_DEP_1) | instskip(NEXT) | instid1(VALU_DEP_1)
	v_add_nc_u32_e32 v10, v9, v10
	v_add_nc_u32_e32 v5, v10, v5
	s_delay_alu instid0(VALU_DEP_1) | instskip(NEXT) | instid1(VALU_DEP_1)
	v_add_nc_u32_e32 v6, v5, v6
	;; [unrolled: 3-line block ×6, first 2 shown]
	v_add_nc_u32_e32 v1, v8, v1
	ds_store_2addr_b32 v20, v2, v11 offset1:1
	ds_store_2addr_b32 v20, v12, v9 offset0:2 offset1:3
	ds_store_2addr_b32 v20, v10, v5 offset0:4 offset1:5
	;; [unrolled: 1-line block ×7, first 2 shown]
	; wave barrier
	ds_load_b32 v3, v19
	ds_load_b32 v4, v22
	;; [unrolled: 1-line block ×16, first 2 shown]
	v_add_co_u32 v1, s0, v18, v17
	s_delay_alu instid0(VALU_DEP_1)
	v_add_co_ci_u32_e64 v2, s0, 0, v21, s0
	s_waitcnt lgkmcnt(15)
	global_store_b32 v[1:2], v3, off
	s_waitcnt lgkmcnt(14)
	global_store_b32 v[1:2], v4, off offset:128
	s_waitcnt lgkmcnt(13)
	global_store_b32 v[1:2], v5, off offset:256
	;; [unrolled: 2-line block ×15, first 2 shown]
	s_and_saveexec_b32 s0, vcc_lo
	s_cbranch_execz .LBB4_6
; %bb.5:
	v_mov_b32_e32 v1, 0x1000
	global_store_b32 v1, v0, s[2:3]
.LBB4_6:
	s_nop 0
	s_sendmsg sendmsg(MSG_DEALLOC_VGPRS)
	s_endpgm
	.section	.rodata,"a",@progbits
	.p2align	6, 0x0
	.amdhsa_kernel _Z20BlockPrefixSumKernelILi64ELi16ELN6hipcub16HIPCUB_304000_NS18BlockScanAlgorithmE1EEvPKiPi
		.amdhsa_group_segment_fixed_size 4224
		.amdhsa_private_segment_fixed_size 0
		.amdhsa_kernarg_size 16
		.amdhsa_user_sgpr_count 15
		.amdhsa_user_sgpr_dispatch_ptr 0
		.amdhsa_user_sgpr_queue_ptr 0
		.amdhsa_user_sgpr_kernarg_segment_ptr 1
		.amdhsa_user_sgpr_dispatch_id 0
		.amdhsa_user_sgpr_private_segment_size 0
		.amdhsa_wavefront_size32 1
		.amdhsa_uses_dynamic_stack 0
		.amdhsa_enable_private_segment 0
		.amdhsa_system_sgpr_workgroup_id_x 1
		.amdhsa_system_sgpr_workgroup_id_y 0
		.amdhsa_system_sgpr_workgroup_id_z 0
		.amdhsa_system_sgpr_workgroup_info 0
		.amdhsa_system_vgpr_workitem_id 0
		.amdhsa_next_free_vgpr 52
		.amdhsa_next_free_sgpr 4
		.amdhsa_reserve_vcc 1
		.amdhsa_float_round_mode_32 0
		.amdhsa_float_round_mode_16_64 0
		.amdhsa_float_denorm_mode_32 3
		.amdhsa_float_denorm_mode_16_64 3
		.amdhsa_dx10_clamp 1
		.amdhsa_ieee_mode 1
		.amdhsa_fp16_overflow 0
		.amdhsa_workgroup_processor_mode 1
		.amdhsa_memory_ordered 1
		.amdhsa_forward_progress 0
		.amdhsa_shared_vgpr_count 0
		.amdhsa_exception_fp_ieee_invalid_op 0
		.amdhsa_exception_fp_denorm_src 0
		.amdhsa_exception_fp_ieee_div_zero 0
		.amdhsa_exception_fp_ieee_overflow 0
		.amdhsa_exception_fp_ieee_underflow 0
		.amdhsa_exception_fp_ieee_inexact 0
		.amdhsa_exception_int_div_zero 0
	.end_amdhsa_kernel
	.section	.text._Z20BlockPrefixSumKernelILi64ELi16ELN6hipcub16HIPCUB_304000_NS18BlockScanAlgorithmE1EEvPKiPi,"axG",@progbits,_Z20BlockPrefixSumKernelILi64ELi16ELN6hipcub16HIPCUB_304000_NS18BlockScanAlgorithmE1EEvPKiPi,comdat
.Lfunc_end4:
	.size	_Z20BlockPrefixSumKernelILi64ELi16ELN6hipcub16HIPCUB_304000_NS18BlockScanAlgorithmE1EEvPKiPi, .Lfunc_end4-_Z20BlockPrefixSumKernelILi64ELi16ELN6hipcub16HIPCUB_304000_NS18BlockScanAlgorithmE1EEvPKiPi
                                        ; -- End function
	.section	.AMDGPU.csdata,"",@progbits
; Kernel info:
; codeLenInByte = 1872
; NumSgprs: 6
; NumVgprs: 52
; ScratchSize: 0
; MemoryBound: 0
; FloatMode: 240
; IeeeMode: 1
; LDSByteSize: 4224 bytes/workgroup (compile time only)
; SGPRBlocks: 0
; VGPRBlocks: 6
; NumSGPRsForWavesPerEU: 6
; NumVGPRsForWavesPerEU: 52
; Occupancy: 16
; WaveLimiterHint : 1
; COMPUTE_PGM_RSRC2:SCRATCH_EN: 0
; COMPUTE_PGM_RSRC2:USER_SGPR: 15
; COMPUTE_PGM_RSRC2:TRAP_HANDLER: 0
; COMPUTE_PGM_RSRC2:TGID_X_EN: 1
; COMPUTE_PGM_RSRC2:TGID_Y_EN: 0
; COMPUTE_PGM_RSRC2:TGID_Z_EN: 0
; COMPUTE_PGM_RSRC2:TIDIG_COMP_CNT: 0
	.section	.text._Z20BlockPrefixSumKernelILi1024ELi1ELN6hipcub16HIPCUB_304000_NS18BlockScanAlgorithmE0EEvPKiPi,"axG",@progbits,_Z20BlockPrefixSumKernelILi1024ELi1ELN6hipcub16HIPCUB_304000_NS18BlockScanAlgorithmE0EEvPKiPi,comdat
	.protected	_Z20BlockPrefixSumKernelILi1024ELi1ELN6hipcub16HIPCUB_304000_NS18BlockScanAlgorithmE0EEvPKiPi ; -- Begin function _Z20BlockPrefixSumKernelILi1024ELi1ELN6hipcub16HIPCUB_304000_NS18BlockScanAlgorithmE0EEvPKiPi
	.globl	_Z20BlockPrefixSumKernelILi1024ELi1ELN6hipcub16HIPCUB_304000_NS18BlockScanAlgorithmE0EEvPKiPi
	.p2align	8
	.type	_Z20BlockPrefixSumKernelILi1024ELi1ELN6hipcub16HIPCUB_304000_NS18BlockScanAlgorithmE0EEvPKiPi,@function
_Z20BlockPrefixSumKernelILi1024ELi1ELN6hipcub16HIPCUB_304000_NS18BlockScanAlgorithmE0EEvPKiPi: ; @_Z20BlockPrefixSumKernelILi1024ELi1ELN6hipcub16HIPCUB_304000_NS18BlockScanAlgorithmE0EEvPKiPi
; %bb.0:
	s_load_b128 s[4:7], s[0:1], 0x0
	v_mbcnt_lo_u32_b32 v3, -1, 0
	v_and_b32_e32 v6, 0x3e0, v0
	v_and_b32_e32 v9, 31, v0
	s_delay_alu instid0(VALU_DEP_3) | instskip(NEXT) | instid1(VALU_DEP_3)
	v_lshlrev_b32_e32 v1, 2, v3
	v_lshlrev_b32_e32 v2, 2, v6
	v_and_b32_e32 v8, 16, v3
	s_delay_alu instid0(VALU_DEP_1) | instskip(SKIP_2) | instid1(VALU_DEP_1)
	v_cmp_eq_u32_e64 s3, 0, v8
	s_waitcnt lgkmcnt(0)
	v_add_co_u32 v4, s0, s4, v1
	v_add_co_ci_u32_e64 v5, null, s5, 0, s0
	s_mov_b32 s5, exec_lo
	s_delay_alu instid0(VALU_DEP_2) | instskip(NEXT) | instid1(VALU_DEP_2)
	v_add_co_u32 v4, vcc_lo, v4, v2
	v_add_co_ci_u32_e32 v5, vcc_lo, 0, v5, vcc_lo
	global_load_b32 v5, v[4:5], off
	v_or_b32_e32 v4, v3, v6
	v_and_b32_e32 v6, 15, v3
	s_delay_alu instid0(VALU_DEP_2) | instskip(NEXT) | instid1(VALU_DEP_2)
	v_lshlrev_b32_e32 v4, 2, v4
	v_cmp_eq_u32_e32 vcc_lo, 0, v6
	v_cmp_lt_u32_e64 s0, 1, v6
	v_cmp_lt_u32_e64 s1, 3, v6
	v_cmp_lt_u32_e64 s2, 7, v6
	s_waitcnt vmcnt(0)
	ds_store_b32 v4, v5
	; wave barrier
	ds_load_b32 v5, v4
	s_waitcnt lgkmcnt(0)
	s_barrier
	buffer_gl0_inv
	v_mov_b32_dpp v7, v5 row_shr:1 row_mask:0xf bank_mask:0xf
	s_delay_alu instid0(VALU_DEP_1) | instskip(NEXT) | instid1(VALU_DEP_1)
	v_cndmask_b32_e64 v7, v7, 0, vcc_lo
	v_add_nc_u32_e32 v5, v7, v5
	s_delay_alu instid0(VALU_DEP_1) | instskip(NEXT) | instid1(VALU_DEP_1)
	v_mov_b32_dpp v7, v5 row_shr:2 row_mask:0xf bank_mask:0xf
	v_cndmask_b32_e64 v7, 0, v7, s0
	s_delay_alu instid0(VALU_DEP_1) | instskip(NEXT) | instid1(VALU_DEP_1)
	v_add_nc_u32_e32 v5, v5, v7
	v_mov_b32_dpp v7, v5 row_shr:4 row_mask:0xf bank_mask:0xf
	s_delay_alu instid0(VALU_DEP_1) | instskip(NEXT) | instid1(VALU_DEP_1)
	v_cndmask_b32_e64 v7, 0, v7, s1
	v_add_nc_u32_e32 v5, v5, v7
	s_delay_alu instid0(VALU_DEP_1) | instskip(NEXT) | instid1(VALU_DEP_1)
	v_mov_b32_dpp v7, v5 row_shr:8 row_mask:0xf bank_mask:0xf
	v_cndmask_b32_e64 v6, 0, v7, s2
	v_bfe_i32 v7, v3, 4, 1
	s_delay_alu instid0(VALU_DEP_2) | instskip(SKIP_4) | instid1(VALU_DEP_2)
	v_add_nc_u32_e32 v5, v5, v6
	ds_swizzle_b32 v6, v5 offset:swizzle(BROADCAST,32,15)
	s_waitcnt lgkmcnt(0)
	v_and_b32_e32 v7, v7, v6
	v_lshrrev_b32_e32 v6, 5, v0
	v_add_nc_u32_e32 v5, v5, v7
	v_cmpx_eq_u32_e32 31, v9
	s_cbranch_execz .LBB5_2
; %bb.1:
	s_delay_alu instid0(VALU_DEP_3)
	v_lshlrev_b32_e32 v7, 2, v6
	ds_store_b32 v7, v5
.LBB5_2:
	s_or_b32 exec_lo, exec_lo, s5
	v_cmp_lt_u32_e64 s4, 31, v0
	s_mov_b32 s8, exec_lo
	s_waitcnt lgkmcnt(0)
	s_barrier
	buffer_gl0_inv
	v_cmpx_gt_u32_e32 32, v0
	s_cbranch_execz .LBB5_4
; %bb.3:
	v_lshlrev_b32_e32 v7, 2, v0
	ds_load_b32 v8, v7
	s_waitcnt lgkmcnt(0)
	v_mov_b32_dpp v9, v8 row_shr:1 row_mask:0xf bank_mask:0xf
	s_delay_alu instid0(VALU_DEP_1) | instskip(NEXT) | instid1(VALU_DEP_1)
	v_cndmask_b32_e64 v9, v9, 0, vcc_lo
	v_add_nc_u32_e32 v8, v9, v8
	s_delay_alu instid0(VALU_DEP_1) | instskip(NEXT) | instid1(VALU_DEP_1)
	v_mov_b32_dpp v9, v8 row_shr:2 row_mask:0xf bank_mask:0xf
	v_cndmask_b32_e64 v9, 0, v9, s0
	s_delay_alu instid0(VALU_DEP_1) | instskip(NEXT) | instid1(VALU_DEP_1)
	v_add_nc_u32_e32 v8, v8, v9
	v_mov_b32_dpp v9, v8 row_shr:4 row_mask:0xf bank_mask:0xf
	s_delay_alu instid0(VALU_DEP_1) | instskip(NEXT) | instid1(VALU_DEP_1)
	v_cndmask_b32_e64 v9, 0, v9, s1
	v_add_nc_u32_e32 v8, v8, v9
	s_delay_alu instid0(VALU_DEP_1) | instskip(NEXT) | instid1(VALU_DEP_1)
	v_mov_b32_dpp v9, v8 row_shr:8 row_mask:0xf bank_mask:0xf
	v_cndmask_b32_e64 v9, 0, v9, s2
	s_delay_alu instid0(VALU_DEP_1) | instskip(SKIP_3) | instid1(VALU_DEP_1)
	v_add_nc_u32_e32 v8, v8, v9
	ds_swizzle_b32 v9, v8 offset:swizzle(BROADCAST,32,15)
	s_waitcnt lgkmcnt(0)
	v_cndmask_b32_e64 v9, v9, 0, s3
	v_add_nc_u32_e32 v8, v8, v9
	ds_store_b32 v7, v8
.LBB5_4:
	s_or_b32 exec_lo, exec_lo, s8
	v_dual_mov_b32 v7, 0 :: v_dual_mov_b32 v8, 0
	s_waitcnt lgkmcnt(0)
	s_barrier
	buffer_gl0_inv
	s_and_saveexec_b32 s0, s4
	s_cbranch_execz .LBB5_6
; %bb.5:
	v_lshl_add_u32 v6, v6, 2, -4
	ds_load_b32 v8, v6
.LBB5_6:
	s_or_b32 exec_lo, exec_lo, s0
	v_add_nc_u32_e32 v6, -1, v3
	v_add_co_u32 v1, s0, s6, v1
	s_waitcnt lgkmcnt(0)
	v_add_nc_u32_e32 v5, v8, v5
	s_delay_alu instid0(VALU_DEP_3)
	v_cmp_gt_i32_e32 vcc_lo, 0, v6
	v_cndmask_b32_e32 v6, v6, v3, vcc_lo
	v_cmp_eq_u32_e32 vcc_lo, 0, v3
	ds_load_b32 v3, v7 offset:124
	s_waitcnt lgkmcnt(0)
	s_barrier
	v_lshlrev_b32_e32 v6, 2, v6
	buffer_gl0_inv
	ds_bpermute_b32 v5, v6, v5
	s_waitcnt lgkmcnt(0)
	v_cndmask_b32_e32 v5, v5, v8, vcc_lo
	v_add_co_u32 v1, vcc_lo, v1, v2
	ds_store_b32 v4, v5
	; wave barrier
	ds_load_b32 v4, v4
	v_add_co_ci_u32_e64 v5, null, s7, 0, s0
	s_mov_b32 s0, exec_lo
	s_delay_alu instid0(VALU_DEP_1)
	v_add_co_ci_u32_e32 v2, vcc_lo, 0, v5, vcc_lo
	s_waitcnt lgkmcnt(0)
	global_store_b32 v[1:2], v4, off
	v_cmpx_eq_u32_e32 0, v0
	s_cbranch_execz .LBB5_8
; %bb.7:
	v_mov_b32_e32 v0, 0x1000
	global_store_b32 v0, v3, s[6:7]
.LBB5_8:
	s_nop 0
	s_sendmsg sendmsg(MSG_DEALLOC_VGPRS)
	s_endpgm
	.section	.rodata,"a",@progbits
	.p2align	6, 0x0
	.amdhsa_kernel _Z20BlockPrefixSumKernelILi1024ELi1ELN6hipcub16HIPCUB_304000_NS18BlockScanAlgorithmE0EEvPKiPi
		.amdhsa_group_segment_fixed_size 4096
		.amdhsa_private_segment_fixed_size 0
		.amdhsa_kernarg_size 16
		.amdhsa_user_sgpr_count 15
		.amdhsa_user_sgpr_dispatch_ptr 0
		.amdhsa_user_sgpr_queue_ptr 0
		.amdhsa_user_sgpr_kernarg_segment_ptr 1
		.amdhsa_user_sgpr_dispatch_id 0
		.amdhsa_user_sgpr_private_segment_size 0
		.amdhsa_wavefront_size32 1
		.amdhsa_uses_dynamic_stack 0
		.amdhsa_enable_private_segment 0
		.amdhsa_system_sgpr_workgroup_id_x 1
		.amdhsa_system_sgpr_workgroup_id_y 0
		.amdhsa_system_sgpr_workgroup_id_z 0
		.amdhsa_system_sgpr_workgroup_info 0
		.amdhsa_system_vgpr_workitem_id 0
		.amdhsa_next_free_vgpr 10
		.amdhsa_next_free_sgpr 9
		.amdhsa_reserve_vcc 1
		.amdhsa_float_round_mode_32 0
		.amdhsa_float_round_mode_16_64 0
		.amdhsa_float_denorm_mode_32 3
		.amdhsa_float_denorm_mode_16_64 3
		.amdhsa_dx10_clamp 1
		.amdhsa_ieee_mode 1
		.amdhsa_fp16_overflow 0
		.amdhsa_workgroup_processor_mode 1
		.amdhsa_memory_ordered 1
		.amdhsa_forward_progress 0
		.amdhsa_shared_vgpr_count 0
		.amdhsa_exception_fp_ieee_invalid_op 0
		.amdhsa_exception_fp_denorm_src 0
		.amdhsa_exception_fp_ieee_div_zero 0
		.amdhsa_exception_fp_ieee_overflow 0
		.amdhsa_exception_fp_ieee_underflow 0
		.amdhsa_exception_fp_ieee_inexact 0
		.amdhsa_exception_int_div_zero 0
	.end_amdhsa_kernel
	.section	.text._Z20BlockPrefixSumKernelILi1024ELi1ELN6hipcub16HIPCUB_304000_NS18BlockScanAlgorithmE0EEvPKiPi,"axG",@progbits,_Z20BlockPrefixSumKernelILi1024ELi1ELN6hipcub16HIPCUB_304000_NS18BlockScanAlgorithmE0EEvPKiPi,comdat
.Lfunc_end5:
	.size	_Z20BlockPrefixSumKernelILi1024ELi1ELN6hipcub16HIPCUB_304000_NS18BlockScanAlgorithmE0EEvPKiPi, .Lfunc_end5-_Z20BlockPrefixSumKernelILi1024ELi1ELN6hipcub16HIPCUB_304000_NS18BlockScanAlgorithmE0EEvPKiPi
                                        ; -- End function
	.section	.AMDGPU.csdata,"",@progbits
; Kernel info:
; codeLenInByte = 764
; NumSgprs: 11
; NumVgprs: 10
; ScratchSize: 0
; MemoryBound: 0
; FloatMode: 240
; IeeeMode: 1
; LDSByteSize: 4096 bytes/workgroup (compile time only)
; SGPRBlocks: 1
; VGPRBlocks: 1
; NumSGPRsForWavesPerEU: 11
; NumVGPRsForWavesPerEU: 10
; Occupancy: 16
; WaveLimiterHint : 0
; COMPUTE_PGM_RSRC2:SCRATCH_EN: 0
; COMPUTE_PGM_RSRC2:USER_SGPR: 15
; COMPUTE_PGM_RSRC2:TRAP_HANDLER: 0
; COMPUTE_PGM_RSRC2:TGID_X_EN: 1
; COMPUTE_PGM_RSRC2:TGID_Y_EN: 0
; COMPUTE_PGM_RSRC2:TGID_Z_EN: 0
; COMPUTE_PGM_RSRC2:TIDIG_COMP_CNT: 0
	.section	.text._Z20BlockPrefixSumKernelILi512ELi2ELN6hipcub16HIPCUB_304000_NS18BlockScanAlgorithmE0EEvPKiPi,"axG",@progbits,_Z20BlockPrefixSumKernelILi512ELi2ELN6hipcub16HIPCUB_304000_NS18BlockScanAlgorithmE0EEvPKiPi,comdat
	.protected	_Z20BlockPrefixSumKernelILi512ELi2ELN6hipcub16HIPCUB_304000_NS18BlockScanAlgorithmE0EEvPKiPi ; -- Begin function _Z20BlockPrefixSumKernelILi512ELi2ELN6hipcub16HIPCUB_304000_NS18BlockScanAlgorithmE0EEvPKiPi
	.globl	_Z20BlockPrefixSumKernelILi512ELi2ELN6hipcub16HIPCUB_304000_NS18BlockScanAlgorithmE0EEvPKiPi
	.p2align	8
	.type	_Z20BlockPrefixSumKernelILi512ELi2ELN6hipcub16HIPCUB_304000_NS18BlockScanAlgorithmE0EEvPKiPi,@function
_Z20BlockPrefixSumKernelILi512ELi2ELN6hipcub16HIPCUB_304000_NS18BlockScanAlgorithmE0EEvPKiPi: ; @_Z20BlockPrefixSumKernelILi512ELi2ELN6hipcub16HIPCUB_304000_NS18BlockScanAlgorithmE0EEvPKiPi
; %bb.0:
	s_load_b128 s[4:7], s[0:1], 0x0
	v_lshlrev_b32_e32 v1, 1, v0
	v_mbcnt_lo_u32_b32 v5, -1, 0
	v_and_b32_e32 v10, 0x3e0, v0
	s_delay_alu instid0(VALU_DEP_3) | instskip(NEXT) | instid1(VALU_DEP_3)
	v_and_b32_e32 v6, 0x7c0, v1
	v_lshlrev_b32_e32 v3, 2, v5
	s_delay_alu instid0(VALU_DEP_3) | instskip(SKIP_1) | instid1(VALU_DEP_4)
	v_or_b32_e32 v8, v5, v10
	v_min_u32_e32 v10, 0x1e0, v10
	v_lshlrev_b32_e32 v4, 2, v6
	s_delay_alu instid0(VALU_DEP_3) | instskip(SKIP_1) | instid1(VALU_DEP_4)
	v_lshlrev_b32_e32 v12, 1, v8
	v_bfe_u32 v8, v8, 4, 27
	v_or_b32_e32 v10, 31, v10
	s_delay_alu instid0(VALU_DEP_2) | instskip(SKIP_2) | instid1(VALU_DEP_1)
	v_add_lshl_u32 v8, v8, v12, 2
	s_waitcnt lgkmcnt(0)
	v_add_co_u32 v1, s0, s4, v3
	v_add_co_ci_u32_e64 v2, null, s5, 0, s0
	s_mov_b32 s4, exec_lo
	s_delay_alu instid0(VALU_DEP_2) | instskip(NEXT) | instid1(VALU_DEP_2)
	v_add_co_u32 v1, vcc_lo, v1, v4
	v_add_co_ci_u32_e32 v2, vcc_lo, 0, v2, vcc_lo
	s_clause 0x1
	global_load_b32 v9, v[1:2], off
	global_load_b32 v1, v[1:2], off offset:128
	v_or_b32_e32 v2, v5, v6
	v_lshrrev_b32_e32 v6, 5, v6
	s_delay_alu instid0(VALU_DEP_2) | instskip(NEXT) | instid1(VALU_DEP_2)
	v_or_b32_e32 v7, 32, v2
	v_add_lshl_u32 v6, v6, v2, 2
	s_delay_alu instid0(VALU_DEP_2) | instskip(NEXT) | instid1(VALU_DEP_1)
	v_lshrrev_b32_e32 v11, 5, v7
	v_add_lshl_u32 v7, v11, v7, 2
	s_waitcnt vmcnt(1)
	ds_store_b32 v6, v9
	s_waitcnt vmcnt(0)
	ds_store_b32 v7, v1
	; wave barrier
	ds_load_2addr_b32 v[1:2], v8 offset1:1
	v_and_b32_e32 v9, 15, v5
	s_waitcnt lgkmcnt(0)
	s_barrier
	buffer_gl0_inv
	v_cmp_eq_u32_e32 vcc_lo, 0, v9
	v_cmp_lt_u32_e64 s0, 1, v9
	v_cmp_lt_u32_e64 s1, 3, v9
	;; [unrolled: 1-line block ×3, first 2 shown]
	v_add_nc_u32_e32 v2, v2, v1
	s_delay_alu instid0(VALU_DEP_1) | instskip(NEXT) | instid1(VALU_DEP_1)
	v_mov_b32_dpp v11, v2 row_shr:1 row_mask:0xf bank_mask:0xf
	v_cndmask_b32_e64 v11, v11, 0, vcc_lo
	s_delay_alu instid0(VALU_DEP_1) | instskip(NEXT) | instid1(VALU_DEP_1)
	v_add_nc_u32_e32 v2, v11, v2
	v_mov_b32_dpp v11, v2 row_shr:2 row_mask:0xf bank_mask:0xf
	s_delay_alu instid0(VALU_DEP_1) | instskip(NEXT) | instid1(VALU_DEP_1)
	v_cndmask_b32_e64 v11, 0, v11, s0
	v_add_nc_u32_e32 v2, v2, v11
	s_delay_alu instid0(VALU_DEP_1) | instskip(NEXT) | instid1(VALU_DEP_1)
	v_mov_b32_dpp v11, v2 row_shr:4 row_mask:0xf bank_mask:0xf
	v_cndmask_b32_e64 v11, 0, v11, s1
	s_delay_alu instid0(VALU_DEP_1) | instskip(NEXT) | instid1(VALU_DEP_1)
	v_add_nc_u32_e32 v2, v2, v11
	v_mov_b32_dpp v11, v2 row_shr:8 row_mask:0xf bank_mask:0xf
	s_delay_alu instid0(VALU_DEP_1) | instskip(SKIP_1) | instid1(VALU_DEP_2)
	v_cndmask_b32_e64 v9, 0, v11, s2
	v_bfe_i32 v11, v5, 4, 1
	v_add_nc_u32_e32 v2, v2, v9
	ds_swizzle_b32 v9, v2 offset:swizzle(BROADCAST,32,15)
	s_waitcnt lgkmcnt(0)
	v_and_b32_e32 v11, v11, v9
	v_lshrrev_b32_e32 v9, 5, v0
	s_delay_alu instid0(VALU_DEP_2)
	v_add_nc_u32_e32 v2, v2, v11
	v_cmpx_eq_u32_e64 v10, v0
	s_cbranch_execz .LBB6_2
; %bb.1:
	s_delay_alu instid0(VALU_DEP_3)
	v_lshlrev_b32_e32 v10, 2, v9
	ds_store_b32 v10, v2
.LBB6_2:
	s_or_b32 exec_lo, exec_lo, s4
	s_delay_alu instid0(SALU_CYCLE_1)
	s_mov_b32 s4, exec_lo
	s_waitcnt lgkmcnt(0)
	s_barrier
	buffer_gl0_inv
	v_cmpx_gt_u32_e32 16, v0
	s_cbranch_execz .LBB6_4
; %bb.3:
	v_lshlrev_b32_e32 v10, 2, v0
	ds_load_b32 v11, v10
	s_waitcnt lgkmcnt(0)
	v_mov_b32_dpp v12, v11 row_shr:1 row_mask:0xf bank_mask:0xf
	s_delay_alu instid0(VALU_DEP_1) | instskip(NEXT) | instid1(VALU_DEP_1)
	v_cndmask_b32_e64 v12, v12, 0, vcc_lo
	v_add_nc_u32_e32 v11, v12, v11
	s_delay_alu instid0(VALU_DEP_1) | instskip(NEXT) | instid1(VALU_DEP_1)
	v_mov_b32_dpp v12, v11 row_shr:2 row_mask:0xf bank_mask:0xf
	v_cndmask_b32_e64 v12, 0, v12, s0
	s_delay_alu instid0(VALU_DEP_1) | instskip(NEXT) | instid1(VALU_DEP_1)
	v_add_nc_u32_e32 v11, v11, v12
	v_mov_b32_dpp v12, v11 row_shr:4 row_mask:0xf bank_mask:0xf
	s_delay_alu instid0(VALU_DEP_1) | instskip(NEXT) | instid1(VALU_DEP_1)
	v_cndmask_b32_e64 v12, 0, v12, s1
	v_add_nc_u32_e32 v11, v11, v12
	s_delay_alu instid0(VALU_DEP_1) | instskip(NEXT) | instid1(VALU_DEP_1)
	v_mov_b32_dpp v12, v11 row_shr:8 row_mask:0xf bank_mask:0xf
	v_cndmask_b32_e64 v12, 0, v12, s2
	s_delay_alu instid0(VALU_DEP_1)
	v_add_nc_u32_e32 v11, v11, v12
	ds_store_b32 v10, v11
.LBB6_4:
	s_or_b32 exec_lo, exec_lo, s4
	v_dual_mov_b32 v10, 0 :: v_dual_mov_b32 v11, 0
	s_mov_b32 s0, exec_lo
	s_waitcnt lgkmcnt(0)
	s_barrier
	buffer_gl0_inv
	v_cmpx_lt_u32_e32 31, v0
	s_cbranch_execz .LBB6_6
; %bb.5:
	v_lshl_add_u32 v9, v9, 2, -4
	ds_load_b32 v11, v9
.LBB6_6:
	s_or_b32 exec_lo, exec_lo, s0
	v_add_nc_u32_e32 v9, -1, v5
	s_waitcnt lgkmcnt(0)
	v_add_nc_u32_e32 v2, v11, v2
	s_delay_alu instid0(VALU_DEP_2) | instskip(SKIP_2) | instid1(VALU_DEP_2)
	v_cmp_gt_i32_e32 vcc_lo, 0, v9
	v_cndmask_b32_e32 v9, v9, v5, vcc_lo
	v_cmp_eq_u32_e32 vcc_lo, 0, v5
	v_lshlrev_b32_e32 v9, 2, v9
	ds_bpermute_b32 v2, v9, v2
	s_waitcnt lgkmcnt(0)
	v_cndmask_b32_e32 v2, v2, v11, vcc_lo
	v_cmp_eq_u32_e32 vcc_lo, 0, v0
	ds_load_b32 v0, v10 offset:60
	s_waitcnt lgkmcnt(0)
	s_barrier
	buffer_gl0_inv
	v_cndmask_b32_e64 v2, v2, 0, vcc_lo
	s_delay_alu instid0(VALU_DEP_1) | instskip(SKIP_4) | instid1(VALU_DEP_1)
	v_add_nc_u32_e32 v1, v2, v1
	ds_store_2addr_b32 v8, v2, v1 offset1:1
	; wave barrier
	ds_load_b32 v5, v6
	ds_load_b32 v6, v7
	v_add_co_u32 v1, s0, s6, v3
	v_add_co_ci_u32_e64 v2, null, s7, 0, s0
	s_delay_alu instid0(VALU_DEP_2) | instskip(NEXT) | instid1(VALU_DEP_1)
	v_add_co_u32 v1, s0, v1, v4
	v_add_co_ci_u32_e64 v2, s0, 0, v2, s0
	s_waitcnt lgkmcnt(1)
	global_store_b32 v[1:2], v5, off
	s_waitcnt lgkmcnt(0)
	global_store_b32 v[1:2], v6, off offset:128
	s_and_saveexec_b32 s0, vcc_lo
	s_cbranch_execz .LBB6_8
; %bb.7:
	v_mov_b32_e32 v1, 0x1000
	global_store_b32 v1, v0, s[6:7]
.LBB6_8:
	s_nop 0
	s_sendmsg sendmsg(MSG_DEALLOC_VGPRS)
	s_endpgm
	.section	.rodata,"a",@progbits
	.p2align	6, 0x0
	.amdhsa_kernel _Z20BlockPrefixSumKernelILi512ELi2ELN6hipcub16HIPCUB_304000_NS18BlockScanAlgorithmE0EEvPKiPi
		.amdhsa_group_segment_fixed_size 4224
		.amdhsa_private_segment_fixed_size 0
		.amdhsa_kernarg_size 16
		.amdhsa_user_sgpr_count 15
		.amdhsa_user_sgpr_dispatch_ptr 0
		.amdhsa_user_sgpr_queue_ptr 0
		.amdhsa_user_sgpr_kernarg_segment_ptr 1
		.amdhsa_user_sgpr_dispatch_id 0
		.amdhsa_user_sgpr_private_segment_size 0
		.amdhsa_wavefront_size32 1
		.amdhsa_uses_dynamic_stack 0
		.amdhsa_enable_private_segment 0
		.amdhsa_system_sgpr_workgroup_id_x 1
		.amdhsa_system_sgpr_workgroup_id_y 0
		.amdhsa_system_sgpr_workgroup_id_z 0
		.amdhsa_system_sgpr_workgroup_info 0
		.amdhsa_system_vgpr_workitem_id 0
		.amdhsa_next_free_vgpr 13
		.amdhsa_next_free_sgpr 8
		.amdhsa_reserve_vcc 1
		.amdhsa_float_round_mode_32 0
		.amdhsa_float_round_mode_16_64 0
		.amdhsa_float_denorm_mode_32 3
		.amdhsa_float_denorm_mode_16_64 3
		.amdhsa_dx10_clamp 1
		.amdhsa_ieee_mode 1
		.amdhsa_fp16_overflow 0
		.amdhsa_workgroup_processor_mode 1
		.amdhsa_memory_ordered 1
		.amdhsa_forward_progress 0
		.amdhsa_shared_vgpr_count 0
		.amdhsa_exception_fp_ieee_invalid_op 0
		.amdhsa_exception_fp_denorm_src 0
		.amdhsa_exception_fp_ieee_div_zero 0
		.amdhsa_exception_fp_ieee_overflow 0
		.amdhsa_exception_fp_ieee_underflow 0
		.amdhsa_exception_fp_ieee_inexact 0
		.amdhsa_exception_int_div_zero 0
	.end_amdhsa_kernel
	.section	.text._Z20BlockPrefixSumKernelILi512ELi2ELN6hipcub16HIPCUB_304000_NS18BlockScanAlgorithmE0EEvPKiPi,"axG",@progbits,_Z20BlockPrefixSumKernelILi512ELi2ELN6hipcub16HIPCUB_304000_NS18BlockScanAlgorithmE0EEvPKiPi,comdat
.Lfunc_end6:
	.size	_Z20BlockPrefixSumKernelILi512ELi2ELN6hipcub16HIPCUB_304000_NS18BlockScanAlgorithmE0EEvPKiPi, .Lfunc_end6-_Z20BlockPrefixSumKernelILi512ELi2ELN6hipcub16HIPCUB_304000_NS18BlockScanAlgorithmE0EEvPKiPi
                                        ; -- End function
	.section	.AMDGPU.csdata,"",@progbits
; Kernel info:
; codeLenInByte = 884
; NumSgprs: 10
; NumVgprs: 13
; ScratchSize: 0
; MemoryBound: 0
; FloatMode: 240
; IeeeMode: 1
; LDSByteSize: 4224 bytes/workgroup (compile time only)
; SGPRBlocks: 1
; VGPRBlocks: 1
; NumSGPRsForWavesPerEU: 10
; NumVGPRsForWavesPerEU: 13
; Occupancy: 16
; WaveLimiterHint : 1
; COMPUTE_PGM_RSRC2:SCRATCH_EN: 0
; COMPUTE_PGM_RSRC2:USER_SGPR: 15
; COMPUTE_PGM_RSRC2:TRAP_HANDLER: 0
; COMPUTE_PGM_RSRC2:TGID_X_EN: 1
; COMPUTE_PGM_RSRC2:TGID_Y_EN: 0
; COMPUTE_PGM_RSRC2:TGID_Z_EN: 0
; COMPUTE_PGM_RSRC2:TIDIG_COMP_CNT: 0
	.section	.text._Z20BlockPrefixSumKernelILi256ELi4ELN6hipcub16HIPCUB_304000_NS18BlockScanAlgorithmE0EEvPKiPi,"axG",@progbits,_Z20BlockPrefixSumKernelILi256ELi4ELN6hipcub16HIPCUB_304000_NS18BlockScanAlgorithmE0EEvPKiPi,comdat
	.protected	_Z20BlockPrefixSumKernelILi256ELi4ELN6hipcub16HIPCUB_304000_NS18BlockScanAlgorithmE0EEvPKiPi ; -- Begin function _Z20BlockPrefixSumKernelILi256ELi4ELN6hipcub16HIPCUB_304000_NS18BlockScanAlgorithmE0EEvPKiPi
	.globl	_Z20BlockPrefixSumKernelILi256ELi4ELN6hipcub16HIPCUB_304000_NS18BlockScanAlgorithmE0EEvPKiPi
	.p2align	8
	.type	_Z20BlockPrefixSumKernelILi256ELi4ELN6hipcub16HIPCUB_304000_NS18BlockScanAlgorithmE0EEvPKiPi,@function
_Z20BlockPrefixSumKernelILi256ELi4ELN6hipcub16HIPCUB_304000_NS18BlockScanAlgorithmE0EEvPKiPi: ; @_Z20BlockPrefixSumKernelILi256ELi4ELN6hipcub16HIPCUB_304000_NS18BlockScanAlgorithmE0EEvPKiPi
; %bb.0:
	s_load_b128 s[0:3], s[0:1], 0x0
	v_lshlrev_b32_e32 v12, 2, v0
	v_mbcnt_lo_u32_b32 v7, -1, 0
	v_and_b32_e32 v16, 0x3e0, v0
	s_delay_alu instid0(VALU_DEP_3) | instskip(NEXT) | instid1(VALU_DEP_3)
	v_and_b32_e32 v3, 0xf80, v12
	v_lshlrev_b32_e32 v5, 2, v7
	s_delay_alu instid0(VALU_DEP_3) | instskip(NEXT) | instid1(VALU_DEP_3)
	v_or_b32_e32 v8, v7, v16
	v_lshlrev_b32_e32 v6, 2, v3
	s_delay_alu instid0(VALU_DEP_2) | instskip(SKIP_1) | instid1(VALU_DEP_1)
	v_lshlrev_b32_e32 v13, 2, v8
	v_bfe_u32 v20, v8, 3, 27
	v_add_lshl_u32 v13, v20, v13, 2
	s_waitcnt lgkmcnt(0)
	v_add_co_u32 v1, s0, s0, v5
	s_delay_alu instid0(VALU_DEP_1) | instskip(SKIP_1) | instid1(VALU_DEP_2)
	v_add_co_ci_u32_e64 v2, null, s1, 0, s0
	s_mov_b32 s0, exec_lo
	v_add_co_u32 v1, vcc_lo, v1, v6
	s_delay_alu instid0(VALU_DEP_2)
	v_add_co_ci_u32_e32 v2, vcc_lo, 0, v2, vcc_lo
	s_clause 0x3
	global_load_b32 v4, v[1:2], off
	global_load_b32 v14, v[1:2], off offset:128
	global_load_b32 v15, v[1:2], off offset:256
	;; [unrolled: 1-line block ×3, first 2 shown]
	v_or_b32_e32 v2, v7, v3
	v_lshrrev_b32_e32 v3, 5, v3
	s_delay_alu instid0(VALU_DEP_2) | instskip(SKIP_2) | instid1(VALU_DEP_4)
	v_or_b32_e32 v9, 32, v2
	v_or_b32_e32 v10, 64, v2
	;; [unrolled: 1-line block ×3, first 2 shown]
	v_add_lshl_u32 v8, v3, v2, 2
	s_delay_alu instid0(VALU_DEP_4) | instskip(NEXT) | instid1(VALU_DEP_4)
	v_lshrrev_b32_e32 v17, 5, v9
	v_lshrrev_b32_e32 v18, 5, v10
	s_delay_alu instid0(VALU_DEP_4) | instskip(NEXT) | instid1(VALU_DEP_3)
	v_lshrrev_b32_e32 v19, 5, v11
	v_add_lshl_u32 v9, v17, v9, 2
	s_delay_alu instid0(VALU_DEP_3) | instskip(NEXT) | instid1(VALU_DEP_3)
	v_add_lshl_u32 v10, v18, v10, 2
	v_add_lshl_u32 v11, v19, v11, 2
	s_waitcnt vmcnt(3)
	ds_store_b32 v8, v4
	s_waitcnt vmcnt(2)
	ds_store_b32 v9, v14
	;; [unrolled: 2-line block ×4, first 2 shown]
	; wave barrier
	ds_load_2addr_b32 v[3:4], v13 offset1:1
	ds_load_2addr_b32 v[1:2], v13 offset0:2 offset1:3
	s_waitcnt lgkmcnt(0)
	s_barrier
	buffer_gl0_inv
	v_add_nc_u32_e32 v14, v4, v3
	s_delay_alu instid0(VALU_DEP_1) | instskip(SKIP_1) | instid1(VALU_DEP_2)
	v_add3_u32 v2, v14, v1, v2
	v_and_b32_e32 v14, 15, v7
	v_mov_b32_dpp v15, v2 row_shr:1 row_mask:0xf bank_mask:0xf
	s_delay_alu instid0(VALU_DEP_2) | instskip(NEXT) | instid1(VALU_DEP_2)
	v_cmp_ne_u32_e32 vcc_lo, 0, v14
	v_cndmask_b32_e32 v15, 0, v15, vcc_lo
	v_cmp_lt_u32_e32 vcc_lo, 1, v14
	s_delay_alu instid0(VALU_DEP_2) | instskip(NEXT) | instid1(VALU_DEP_1)
	v_add_nc_u32_e32 v2, v15, v2
	v_mov_b32_dpp v15, v2 row_shr:2 row_mask:0xf bank_mask:0xf
	s_delay_alu instid0(VALU_DEP_1) | instskip(SKIP_2) | instid1(VALU_DEP_3)
	v_cndmask_b32_e32 v15, 0, v15, vcc_lo
	v_cmp_lt_u32_e32 vcc_lo, 3, v14
	v_min_u32_e32 v16, 0xe0, v16
	v_add_nc_u32_e32 v2, v2, v15
	s_delay_alu instid0(VALU_DEP_2) | instskip(NEXT) | instid1(VALU_DEP_2)
	v_or_b32_e32 v16, 31, v16
	v_mov_b32_dpp v15, v2 row_shr:4 row_mask:0xf bank_mask:0xf
	s_delay_alu instid0(VALU_DEP_1) | instskip(SKIP_1) | instid1(VALU_DEP_2)
	v_cndmask_b32_e32 v15, 0, v15, vcc_lo
	v_cmp_lt_u32_e32 vcc_lo, 7, v14
	v_add_nc_u32_e32 v2, v2, v15
	s_delay_alu instid0(VALU_DEP_1) | instskip(NEXT) | instid1(VALU_DEP_1)
	v_mov_b32_dpp v15, v2 row_shr:8 row_mask:0xf bank_mask:0xf
	v_cndmask_b32_e32 v14, 0, v15, vcc_lo
	v_bfe_i32 v15, v7, 4, 1
	s_delay_alu instid0(VALU_DEP_2) | instskip(SKIP_4) | instid1(VALU_DEP_2)
	v_add_nc_u32_e32 v2, v2, v14
	ds_swizzle_b32 v14, v2 offset:swizzle(BROADCAST,32,15)
	s_waitcnt lgkmcnt(0)
	v_and_b32_e32 v15, v15, v14
	v_lshrrev_b32_e32 v14, 5, v0
	v_add_nc_u32_e32 v2, v2, v15
	v_cmpx_eq_u32_e64 v16, v0
	s_cbranch_execz .LBB7_2
; %bb.1:
	s_delay_alu instid0(VALU_DEP_3)
	v_lshlrev_b32_e32 v15, 2, v14
	ds_store_b32 v15, v2
.LBB7_2:
	s_or_b32 exec_lo, exec_lo, s0
	s_delay_alu instid0(SALU_CYCLE_1)
	s_mov_b32 s0, exec_lo
	s_waitcnt lgkmcnt(0)
	s_barrier
	buffer_gl0_inv
	v_cmpx_gt_u32_e32 8, v0
	s_cbranch_execz .LBB7_4
; %bb.3:
	ds_load_b32 v15, v12
	s_waitcnt lgkmcnt(0)
	v_mov_b32_dpp v17, v15 row_shr:1 row_mask:0xf bank_mask:0xf
	v_and_b32_e32 v16, 7, v7
	s_delay_alu instid0(VALU_DEP_1) | instskip(NEXT) | instid1(VALU_DEP_3)
	v_cmp_ne_u32_e32 vcc_lo, 0, v16
	v_cndmask_b32_e32 v17, 0, v17, vcc_lo
	v_cmp_lt_u32_e32 vcc_lo, 1, v16
	s_delay_alu instid0(VALU_DEP_2) | instskip(NEXT) | instid1(VALU_DEP_1)
	v_add_nc_u32_e32 v15, v17, v15
	v_mov_b32_dpp v17, v15 row_shr:2 row_mask:0xf bank_mask:0xf
	s_delay_alu instid0(VALU_DEP_1) | instskip(SKIP_1) | instid1(VALU_DEP_2)
	v_cndmask_b32_e32 v17, 0, v17, vcc_lo
	v_cmp_lt_u32_e32 vcc_lo, 3, v16
	v_add_nc_u32_e32 v15, v15, v17
	s_delay_alu instid0(VALU_DEP_1) | instskip(NEXT) | instid1(VALU_DEP_1)
	v_mov_b32_dpp v17, v15 row_shr:4 row_mask:0xf bank_mask:0xf
	v_cndmask_b32_e32 v16, 0, v17, vcc_lo
	s_delay_alu instid0(VALU_DEP_1)
	v_add_nc_u32_e32 v15, v15, v16
	ds_store_b32 v12, v15
.LBB7_4:
	s_or_b32 exec_lo, exec_lo, s0
	v_dual_mov_b32 v12, 0 :: v_dual_mov_b32 v15, 0
	s_mov_b32 s0, exec_lo
	s_waitcnt lgkmcnt(0)
	s_barrier
	buffer_gl0_inv
	v_cmpx_lt_u32_e32 31, v0
	s_cbranch_execz .LBB7_6
; %bb.5:
	v_lshl_add_u32 v14, v14, 2, -4
	ds_load_b32 v15, v14
.LBB7_6:
	s_or_b32 exec_lo, exec_lo, s0
	v_add_nc_u32_e32 v14, -1, v7
	s_waitcnt lgkmcnt(0)
	v_add_nc_u32_e32 v2, v15, v2
	s_delay_alu instid0(VALU_DEP_2) | instskip(SKIP_2) | instid1(VALU_DEP_2)
	v_cmp_gt_i32_e32 vcc_lo, 0, v14
	v_cndmask_b32_e32 v14, v14, v7, vcc_lo
	v_cmp_eq_u32_e32 vcc_lo, 0, v7
	v_lshlrev_b32_e32 v14, 2, v14
	ds_bpermute_b32 v2, v14, v2
	s_waitcnt lgkmcnt(0)
	v_cndmask_b32_e32 v2, v2, v15, vcc_lo
	v_cmp_eq_u32_e32 vcc_lo, 0, v0
	ds_load_b32 v0, v12 offset:28
	s_waitcnt lgkmcnt(0)
	s_barrier
	buffer_gl0_inv
	v_cndmask_b32_e64 v2, v2, 0, vcc_lo
	s_delay_alu instid0(VALU_DEP_1) | instskip(NEXT) | instid1(VALU_DEP_1)
	v_add_nc_u32_e32 v3, v2, v3
	v_add_nc_u32_e32 v4, v3, v4
	s_delay_alu instid0(VALU_DEP_1)
	v_add_nc_u32_e32 v1, v4, v1
	ds_store_2addr_b32 v13, v2, v3 offset1:1
	ds_store_2addr_b32 v13, v4, v1 offset0:2 offset1:3
	; wave barrier
	ds_load_b32 v3, v8
	ds_load_b32 v4, v9
	;; [unrolled: 1-line block ×4, first 2 shown]
	v_add_co_u32 v1, s0, s2, v5
	s_delay_alu instid0(VALU_DEP_1) | instskip(NEXT) | instid1(VALU_DEP_2)
	v_add_co_ci_u32_e64 v2, null, s3, 0, s0
	v_add_co_u32 v1, s0, v1, v6
	s_delay_alu instid0(VALU_DEP_1)
	v_add_co_ci_u32_e64 v2, s0, 0, v2, s0
	s_waitcnt lgkmcnt(3)
	global_store_b32 v[1:2], v3, off
	s_waitcnt lgkmcnt(2)
	global_store_b32 v[1:2], v4, off offset:128
	s_waitcnt lgkmcnt(1)
	global_store_b32 v[1:2], v7, off offset:256
	;; [unrolled: 2-line block ×3, first 2 shown]
	s_and_saveexec_b32 s0, vcc_lo
	s_cbranch_execz .LBB7_8
; %bb.7:
	v_mov_b32_e32 v1, 0x1000
	global_store_b32 v1, v0, s[2:3]
.LBB7_8:
	s_nop 0
	s_sendmsg sendmsg(MSG_DEALLOC_VGPRS)
	s_endpgm
	.section	.rodata,"a",@progbits
	.p2align	6, 0x0
	.amdhsa_kernel _Z20BlockPrefixSumKernelILi256ELi4ELN6hipcub16HIPCUB_304000_NS18BlockScanAlgorithmE0EEvPKiPi
		.amdhsa_group_segment_fixed_size 4224
		.amdhsa_private_segment_fixed_size 0
		.amdhsa_kernarg_size 16
		.amdhsa_user_sgpr_count 15
		.amdhsa_user_sgpr_dispatch_ptr 0
		.amdhsa_user_sgpr_queue_ptr 0
		.amdhsa_user_sgpr_kernarg_segment_ptr 1
		.amdhsa_user_sgpr_dispatch_id 0
		.amdhsa_user_sgpr_private_segment_size 0
		.amdhsa_wavefront_size32 1
		.amdhsa_uses_dynamic_stack 0
		.amdhsa_enable_private_segment 0
		.amdhsa_system_sgpr_workgroup_id_x 1
		.amdhsa_system_sgpr_workgroup_id_y 0
		.amdhsa_system_sgpr_workgroup_id_z 0
		.amdhsa_system_sgpr_workgroup_info 0
		.amdhsa_system_vgpr_workitem_id 0
		.amdhsa_next_free_vgpr 21
		.amdhsa_next_free_sgpr 4
		.amdhsa_reserve_vcc 1
		.amdhsa_float_round_mode_32 0
		.amdhsa_float_round_mode_16_64 0
		.amdhsa_float_denorm_mode_32 3
		.amdhsa_float_denorm_mode_16_64 3
		.amdhsa_dx10_clamp 1
		.amdhsa_ieee_mode 1
		.amdhsa_fp16_overflow 0
		.amdhsa_workgroup_processor_mode 1
		.amdhsa_memory_ordered 1
		.amdhsa_forward_progress 0
		.amdhsa_shared_vgpr_count 0
		.amdhsa_exception_fp_ieee_invalid_op 0
		.amdhsa_exception_fp_denorm_src 0
		.amdhsa_exception_fp_ieee_div_zero 0
		.amdhsa_exception_fp_ieee_overflow 0
		.amdhsa_exception_fp_ieee_underflow 0
		.amdhsa_exception_fp_ieee_inexact 0
		.amdhsa_exception_int_div_zero 0
	.end_amdhsa_kernel
	.section	.text._Z20BlockPrefixSumKernelILi256ELi4ELN6hipcub16HIPCUB_304000_NS18BlockScanAlgorithmE0EEvPKiPi,"axG",@progbits,_Z20BlockPrefixSumKernelILi256ELi4ELN6hipcub16HIPCUB_304000_NS18BlockScanAlgorithmE0EEvPKiPi,comdat
.Lfunc_end7:
	.size	_Z20BlockPrefixSumKernelILi256ELi4ELN6hipcub16HIPCUB_304000_NS18BlockScanAlgorithmE0EEvPKiPi, .Lfunc_end7-_Z20BlockPrefixSumKernelILi256ELi4ELN6hipcub16HIPCUB_304000_NS18BlockScanAlgorithmE0EEvPKiPi
                                        ; -- End function
	.section	.AMDGPU.csdata,"",@progbits
; Kernel info:
; codeLenInByte = 1000
; NumSgprs: 6
; NumVgprs: 21
; ScratchSize: 0
; MemoryBound: 0
; FloatMode: 240
; IeeeMode: 1
; LDSByteSize: 4224 bytes/workgroup (compile time only)
; SGPRBlocks: 0
; VGPRBlocks: 2
; NumSGPRsForWavesPerEU: 6
; NumVGPRsForWavesPerEU: 21
; Occupancy: 16
; WaveLimiterHint : 1
; COMPUTE_PGM_RSRC2:SCRATCH_EN: 0
; COMPUTE_PGM_RSRC2:USER_SGPR: 15
; COMPUTE_PGM_RSRC2:TRAP_HANDLER: 0
; COMPUTE_PGM_RSRC2:TGID_X_EN: 1
; COMPUTE_PGM_RSRC2:TGID_Y_EN: 0
; COMPUTE_PGM_RSRC2:TGID_Z_EN: 0
; COMPUTE_PGM_RSRC2:TIDIG_COMP_CNT: 0
	.section	.text._Z20BlockPrefixSumKernelILi128ELi8ELN6hipcub16HIPCUB_304000_NS18BlockScanAlgorithmE0EEvPKiPi,"axG",@progbits,_Z20BlockPrefixSumKernelILi128ELi8ELN6hipcub16HIPCUB_304000_NS18BlockScanAlgorithmE0EEvPKiPi,comdat
	.protected	_Z20BlockPrefixSumKernelILi128ELi8ELN6hipcub16HIPCUB_304000_NS18BlockScanAlgorithmE0EEvPKiPi ; -- Begin function _Z20BlockPrefixSumKernelILi128ELi8ELN6hipcub16HIPCUB_304000_NS18BlockScanAlgorithmE0EEvPKiPi
	.globl	_Z20BlockPrefixSumKernelILi128ELi8ELN6hipcub16HIPCUB_304000_NS18BlockScanAlgorithmE0EEvPKiPi
	.p2align	8
	.type	_Z20BlockPrefixSumKernelILi128ELi8ELN6hipcub16HIPCUB_304000_NS18BlockScanAlgorithmE0EEvPKiPi,@function
_Z20BlockPrefixSumKernelILi128ELi8ELN6hipcub16HIPCUB_304000_NS18BlockScanAlgorithmE0EEvPKiPi: ; @_Z20BlockPrefixSumKernelILi128ELi8ELN6hipcub16HIPCUB_304000_NS18BlockScanAlgorithmE0EEvPKiPi
; %bb.0:
	s_load_b128 s[0:3], s[0:1], 0x0
	v_lshlrev_b32_e32 v1, 3, v0
	v_mbcnt_lo_u32_b32 v11, -1, 0
	v_and_b32_e32 v23, 0x3e0, v0
	s_delay_alu instid0(VALU_DEP_3) | instskip(NEXT) | instid1(VALU_DEP_3)
	v_and_b32_e32 v3, 0x1f00, v1
	v_lshlrev_b32_e32 v9, 2, v11
	s_delay_alu instid0(VALU_DEP_2) | instskip(SKIP_2) | instid1(VALU_DEP_2)
	v_lshlrev_b32_e32 v10, 2, v3
	v_or_b32_e32 v13, v11, v3
	v_lshrrev_b32_e32 v3, 5, v3
	v_or_b32_e32 v15, 64, v13
	s_delay_alu instid0(VALU_DEP_2) | instskip(SKIP_3) | instid1(VALU_DEP_1)
	v_add_lshl_u32 v12, v3, v13, 2
	v_or_b32_e32 v3, 32, v13
	s_waitcnt lgkmcnt(0)
	v_add_co_u32 v1, s0, s0, v9
	v_add_co_ci_u32_e64 v2, null, s1, 0, s0
	v_or_b32_e32 v16, 0x60, v13
	s_delay_alu instid0(VALU_DEP_3) | instskip(NEXT) | instid1(VALU_DEP_3)
	v_add_co_u32 v1, vcc_lo, v1, v10
	v_add_co_ci_u32_e32 v2, vcc_lo, 0, v2, vcc_lo
	v_or_b32_e32 v17, 0x80, v13
	v_or_b32_e32 v18, 0xa0, v13
	;; [unrolled: 1-line block ×3, first 2 shown]
	s_clause 0x7
	global_load_b32 v4, v[1:2], off
	global_load_b32 v5, v[1:2], off offset:128
	global_load_b32 v6, v[1:2], off offset:256
	;; [unrolled: 1-line block ×7, first 2 shown]
	v_or_b32_e32 v2, v11, v23
	v_or_b32_e32 v20, 0xe0, v13
	v_lshrrev_b32_e32 v24, 5, v15
	v_lshrrev_b32_e32 v25, 5, v16
	;; [unrolled: 1-line block ×3, first 2 shown]
	v_lshlrev_b32_e32 v14, 3, v2
	v_bfe_u32 v2, v2, 2, 27
	v_lshrrev_b32_e32 v27, 5, v18
	v_lshrrev_b32_e32 v28, 5, v19
	;; [unrolled: 1-line block ×3, first 2 shown]
	v_add_lshl_u32 v15, v24, v15, 2
	v_add_lshl_u32 v13, v2, v14, 2
	v_lshrrev_b32_e32 v2, 5, v3
	v_add_lshl_u32 v16, v25, v16, 2
	v_add_lshl_u32 v17, v26, v17, 2
	;; [unrolled: 1-line block ×6, first 2 shown]
	v_min_u32_e32 v23, 0x60, v23
	s_mov_b32 s0, exec_lo
	s_waitcnt vmcnt(7)
	ds_store_b32 v12, v4
	s_waitcnt vmcnt(6)
	ds_store_b32 v14, v5
	;; [unrolled: 2-line block ×8, first 2 shown]
	; wave barrier
	ds_load_2addr_b32 v[7:8], v13 offset1:1
	ds_load_2addr_b32 v[5:6], v13 offset0:2 offset1:3
	ds_load_2addr_b32 v[3:4], v13 offset0:4 offset1:5
	;; [unrolled: 1-line block ×3, first 2 shown]
	v_or_b32_e32 v23, 31, v23
	s_waitcnt lgkmcnt(0)
	s_barrier
	buffer_gl0_inv
	v_add_nc_u32_e32 v21, v8, v7
	s_delay_alu instid0(VALU_DEP_1) | instskip(NEXT) | instid1(VALU_DEP_1)
	v_add3_u32 v21, v21, v5, v6
	v_add3_u32 v21, v21, v3, v4
	s_delay_alu instid0(VALU_DEP_1) | instskip(SKIP_1) | instid1(VALU_DEP_2)
	v_add3_u32 v2, v21, v1, v2
	v_and_b32_e32 v21, 15, v11
	v_mov_b32_dpp v22, v2 row_shr:1 row_mask:0xf bank_mask:0xf
	s_delay_alu instid0(VALU_DEP_2) | instskip(NEXT) | instid1(VALU_DEP_2)
	v_cmp_ne_u32_e32 vcc_lo, 0, v21
	v_cndmask_b32_e32 v22, 0, v22, vcc_lo
	v_cmp_lt_u32_e32 vcc_lo, 1, v21
	s_delay_alu instid0(VALU_DEP_2) | instskip(NEXT) | instid1(VALU_DEP_1)
	v_add_nc_u32_e32 v2, v22, v2
	v_mov_b32_dpp v22, v2 row_shr:2 row_mask:0xf bank_mask:0xf
	s_delay_alu instid0(VALU_DEP_1) | instskip(SKIP_1) | instid1(VALU_DEP_2)
	v_cndmask_b32_e32 v22, 0, v22, vcc_lo
	v_cmp_lt_u32_e32 vcc_lo, 3, v21
	v_add_nc_u32_e32 v2, v2, v22
	s_delay_alu instid0(VALU_DEP_1) | instskip(NEXT) | instid1(VALU_DEP_1)
	v_mov_b32_dpp v22, v2 row_shr:4 row_mask:0xf bank_mask:0xf
	v_cndmask_b32_e32 v22, 0, v22, vcc_lo
	v_cmp_lt_u32_e32 vcc_lo, 7, v21
	s_delay_alu instid0(VALU_DEP_2) | instskip(NEXT) | instid1(VALU_DEP_1)
	v_add_nc_u32_e32 v2, v2, v22
	v_mov_b32_dpp v22, v2 row_shr:8 row_mask:0xf bank_mask:0xf
	s_delay_alu instid0(VALU_DEP_1) | instskip(SKIP_1) | instid1(VALU_DEP_2)
	v_cndmask_b32_e32 v21, 0, v22, vcc_lo
	v_bfe_i32 v22, v11, 4, 1
	v_add_nc_u32_e32 v2, v2, v21
	ds_swizzle_b32 v21, v2 offset:swizzle(BROADCAST,32,15)
	s_waitcnt lgkmcnt(0)
	v_and_b32_e32 v22, v22, v21
	v_lshrrev_b32_e32 v21, 5, v0
	s_delay_alu instid0(VALU_DEP_2)
	v_add_nc_u32_e32 v2, v2, v22
	v_cmpx_eq_u32_e64 v23, v0
	s_cbranch_execz .LBB8_2
; %bb.1:
	s_delay_alu instid0(VALU_DEP_3)
	v_lshlrev_b32_e32 v22, 2, v21
	ds_store_b32 v22, v2
.LBB8_2:
	s_or_b32 exec_lo, exec_lo, s0
	s_delay_alu instid0(SALU_CYCLE_1)
	s_mov_b32 s0, exec_lo
	s_waitcnt lgkmcnt(0)
	s_barrier
	buffer_gl0_inv
	v_cmpx_gt_u32_e32 4, v0
	s_cbranch_execz .LBB8_4
; %bb.3:
	v_and_b32_e32 v24, 3, v11
	s_delay_alu instid0(VALU_DEP_1) | instskip(SKIP_4) | instid1(VALU_DEP_1)
	v_cmp_ne_u32_e32 vcc_lo, 0, v24
	v_lshlrev_b32_e32 v22, 2, v0
	ds_load_b32 v23, v22
	s_waitcnt lgkmcnt(0)
	v_mov_b32_dpp v25, v23 row_shr:1 row_mask:0xf bank_mask:0xf
	v_cndmask_b32_e32 v25, 0, v25, vcc_lo
	v_cmp_lt_u32_e32 vcc_lo, 1, v24
	s_delay_alu instid0(VALU_DEP_2) | instskip(NEXT) | instid1(VALU_DEP_1)
	v_add_nc_u32_e32 v23, v25, v23
	v_mov_b32_dpp v25, v23 row_shr:2 row_mask:0xf bank_mask:0xf
	s_delay_alu instid0(VALU_DEP_1) | instskip(NEXT) | instid1(VALU_DEP_1)
	v_cndmask_b32_e32 v24, 0, v25, vcc_lo
	v_add_nc_u32_e32 v23, v23, v24
	ds_store_b32 v22, v23
.LBB8_4:
	s_or_b32 exec_lo, exec_lo, s0
	v_dual_mov_b32 v22, 0 :: v_dual_mov_b32 v23, 0
	s_mov_b32 s0, exec_lo
	s_waitcnt lgkmcnt(0)
	s_barrier
	buffer_gl0_inv
	v_cmpx_lt_u32_e32 31, v0
	s_cbranch_execz .LBB8_6
; %bb.5:
	v_lshl_add_u32 v21, v21, 2, -4
	ds_load_b32 v23, v21
.LBB8_6:
	s_or_b32 exec_lo, exec_lo, s0
	v_add_nc_u32_e32 v21, -1, v11
	s_waitcnt lgkmcnt(0)
	v_add_nc_u32_e32 v2, v23, v2
	s_delay_alu instid0(VALU_DEP_2) | instskip(SKIP_2) | instid1(VALU_DEP_2)
	v_cmp_gt_i32_e32 vcc_lo, 0, v21
	v_cndmask_b32_e32 v21, v21, v11, vcc_lo
	v_cmp_eq_u32_e32 vcc_lo, 0, v11
	v_lshlrev_b32_e32 v21, 2, v21
	ds_bpermute_b32 v2, v21, v2
	s_waitcnt lgkmcnt(0)
	v_cndmask_b32_e32 v2, v2, v23, vcc_lo
	v_cmp_eq_u32_e32 vcc_lo, 0, v0
	ds_load_b32 v0, v22 offset:12
	s_waitcnt lgkmcnt(0)
	s_barrier
	buffer_gl0_inv
	v_cndmask_b32_e64 v2, v2, 0, vcc_lo
	s_delay_alu instid0(VALU_DEP_1) | instskip(NEXT) | instid1(VALU_DEP_1)
	v_add_nc_u32_e32 v7, v2, v7
	v_add_nc_u32_e32 v8, v7, v8
	s_delay_alu instid0(VALU_DEP_1) | instskip(NEXT) | instid1(VALU_DEP_1)
	v_add_nc_u32_e32 v5, v8, v5
	v_add_nc_u32_e32 v6, v5, v6
	;; [unrolled: 3-line block ×3, first 2 shown]
	s_delay_alu instid0(VALU_DEP_1)
	v_add_nc_u32_e32 v1, v4, v1
	ds_store_2addr_b32 v13, v2, v7 offset1:1
	ds_store_2addr_b32 v13, v8, v5 offset0:2 offset1:3
	ds_store_2addr_b32 v13, v6, v3 offset0:4 offset1:5
	;; [unrolled: 1-line block ×3, first 2 shown]
	; wave barrier
	ds_load_b32 v3, v12
	ds_load_b32 v4, v14
	;; [unrolled: 1-line block ×8, first 2 shown]
	v_add_co_u32 v1, s0, s2, v9
	s_delay_alu instid0(VALU_DEP_1) | instskip(NEXT) | instid1(VALU_DEP_2)
	v_add_co_ci_u32_e64 v2, null, s3, 0, s0
	v_add_co_u32 v1, s0, v1, v10
	s_delay_alu instid0(VALU_DEP_1)
	v_add_co_ci_u32_e64 v2, s0, 0, v2, s0
	s_waitcnt lgkmcnt(7)
	global_store_b32 v[1:2], v3, off
	s_waitcnt lgkmcnt(6)
	global_store_b32 v[1:2], v4, off offset:128
	s_waitcnt lgkmcnt(5)
	global_store_b32 v[1:2], v5, off offset:256
	;; [unrolled: 2-line block ×7, first 2 shown]
	s_and_saveexec_b32 s0, vcc_lo
	s_cbranch_execz .LBB8_8
; %bb.7:
	v_mov_b32_e32 v1, 0x1000
	global_store_b32 v1, v0, s[2:3]
.LBB8_8:
	s_nop 0
	s_sendmsg sendmsg(MSG_DEALLOC_VGPRS)
	s_endpgm
	.section	.rodata,"a",@progbits
	.p2align	6, 0x0
	.amdhsa_kernel _Z20BlockPrefixSumKernelILi128ELi8ELN6hipcub16HIPCUB_304000_NS18BlockScanAlgorithmE0EEvPKiPi
		.amdhsa_group_segment_fixed_size 4224
		.amdhsa_private_segment_fixed_size 0
		.amdhsa_kernarg_size 16
		.amdhsa_user_sgpr_count 15
		.amdhsa_user_sgpr_dispatch_ptr 0
		.amdhsa_user_sgpr_queue_ptr 0
		.amdhsa_user_sgpr_kernarg_segment_ptr 1
		.amdhsa_user_sgpr_dispatch_id 0
		.amdhsa_user_sgpr_private_segment_size 0
		.amdhsa_wavefront_size32 1
		.amdhsa_uses_dynamic_stack 0
		.amdhsa_enable_private_segment 0
		.amdhsa_system_sgpr_workgroup_id_x 1
		.amdhsa_system_sgpr_workgroup_id_y 0
		.amdhsa_system_sgpr_workgroup_id_z 0
		.amdhsa_system_sgpr_workgroup_info 0
		.amdhsa_system_vgpr_workitem_id 0
		.amdhsa_next_free_vgpr 30
		.amdhsa_next_free_sgpr 4
		.amdhsa_reserve_vcc 1
		.amdhsa_float_round_mode_32 0
		.amdhsa_float_round_mode_16_64 0
		.amdhsa_float_denorm_mode_32 3
		.amdhsa_float_denorm_mode_16_64 3
		.amdhsa_dx10_clamp 1
		.amdhsa_ieee_mode 1
		.amdhsa_fp16_overflow 0
		.amdhsa_workgroup_processor_mode 1
		.amdhsa_memory_ordered 1
		.amdhsa_forward_progress 0
		.amdhsa_shared_vgpr_count 0
		.amdhsa_exception_fp_ieee_invalid_op 0
		.amdhsa_exception_fp_denorm_src 0
		.amdhsa_exception_fp_ieee_div_zero 0
		.amdhsa_exception_fp_ieee_overflow 0
		.amdhsa_exception_fp_ieee_underflow 0
		.amdhsa_exception_fp_ieee_inexact 0
		.amdhsa_exception_int_div_zero 0
	.end_amdhsa_kernel
	.section	.text._Z20BlockPrefixSumKernelILi128ELi8ELN6hipcub16HIPCUB_304000_NS18BlockScanAlgorithmE0EEvPKiPi,"axG",@progbits,_Z20BlockPrefixSumKernelILi128ELi8ELN6hipcub16HIPCUB_304000_NS18BlockScanAlgorithmE0EEvPKiPi,comdat
.Lfunc_end8:
	.size	_Z20BlockPrefixSumKernelILi128ELi8ELN6hipcub16HIPCUB_304000_NS18BlockScanAlgorithmE0EEvPKiPi, .Lfunc_end8-_Z20BlockPrefixSumKernelILi128ELi8ELN6hipcub16HIPCUB_304000_NS18BlockScanAlgorithmE0EEvPKiPi
                                        ; -- End function
	.section	.AMDGPU.csdata,"",@progbits
; Kernel info:
; codeLenInByte = 1272
; NumSgprs: 6
; NumVgprs: 30
; ScratchSize: 0
; MemoryBound: 0
; FloatMode: 240
; IeeeMode: 1
; LDSByteSize: 4224 bytes/workgroup (compile time only)
; SGPRBlocks: 0
; VGPRBlocks: 3
; NumSGPRsForWavesPerEU: 6
; NumVGPRsForWavesPerEU: 30
; Occupancy: 16
; WaveLimiterHint : 1
; COMPUTE_PGM_RSRC2:SCRATCH_EN: 0
; COMPUTE_PGM_RSRC2:USER_SGPR: 15
; COMPUTE_PGM_RSRC2:TRAP_HANDLER: 0
; COMPUTE_PGM_RSRC2:TGID_X_EN: 1
; COMPUTE_PGM_RSRC2:TGID_Y_EN: 0
; COMPUTE_PGM_RSRC2:TGID_Z_EN: 0
; COMPUTE_PGM_RSRC2:TIDIG_COMP_CNT: 0
	.section	.text._Z20BlockPrefixSumKernelILi64ELi16ELN6hipcub16HIPCUB_304000_NS18BlockScanAlgorithmE0EEvPKiPi,"axG",@progbits,_Z20BlockPrefixSumKernelILi64ELi16ELN6hipcub16HIPCUB_304000_NS18BlockScanAlgorithmE0EEvPKiPi,comdat
	.protected	_Z20BlockPrefixSumKernelILi64ELi16ELN6hipcub16HIPCUB_304000_NS18BlockScanAlgorithmE0EEvPKiPi ; -- Begin function _Z20BlockPrefixSumKernelILi64ELi16ELN6hipcub16HIPCUB_304000_NS18BlockScanAlgorithmE0EEvPKiPi
	.globl	_Z20BlockPrefixSumKernelILi64ELi16ELN6hipcub16HIPCUB_304000_NS18BlockScanAlgorithmE0EEvPKiPi
	.p2align	8
	.type	_Z20BlockPrefixSumKernelILi64ELi16ELN6hipcub16HIPCUB_304000_NS18BlockScanAlgorithmE0EEvPKiPi,@function
_Z20BlockPrefixSumKernelILi64ELi16ELN6hipcub16HIPCUB_304000_NS18BlockScanAlgorithmE0EEvPKiPi: ; @_Z20BlockPrefixSumKernelILi64ELi16ELN6hipcub16HIPCUB_304000_NS18BlockScanAlgorithmE0EEvPKiPi
; %bb.0:
	s_load_b128 s[0:3], s[0:1], 0x0
	v_lshlrev_b32_e32 v1, 4, v0
	v_mbcnt_lo_u32_b32 v19, -1, 0
	v_and_b32_e32 v39, 0x3e0, v0
	s_delay_alu instid0(VALU_DEP_3) | instskip(NEXT) | instid1(VALU_DEP_3)
	v_and_b32_e32 v3, 0x3e00, v1
	v_lshlrev_b32_e32 v18, 2, v19
	s_delay_alu instid0(VALU_DEP_2) | instskip(SKIP_2) | instid1(VALU_DEP_2)
	v_lshlrev_b32_e32 v17, 2, v3
	v_or_b32_e32 v21, v19, v3
	v_lshrrev_b32_e32 v3, 5, v3
	v_or_b32_e32 v23, 64, v21
	s_delay_alu instid0(VALU_DEP_2) | instskip(SKIP_3) | instid1(VALU_DEP_1)
	v_add_lshl_u32 v20, v3, v21, 2
	v_or_b32_e32 v3, 32, v21
	s_waitcnt lgkmcnt(0)
	v_add_co_u32 v1, s0, s0, v18
	v_add_co_ci_u32_e64 v2, null, s1, 0, s0
	v_or_b32_e32 v24, 0x60, v21
	s_delay_alu instid0(VALU_DEP_3) | instskip(NEXT) | instid1(VALU_DEP_3)
	v_add_co_u32 v1, vcc_lo, v1, v17
	v_add_co_ci_u32_e32 v2, vcc_lo, 0, v2, vcc_lo
	v_or_b32_e32 v25, 0x80, v21
	v_or_b32_e32 v26, 0xa0, v21
	;; [unrolled: 1-line block ×3, first 2 shown]
	s_clause 0xf
	global_load_b32 v4, v[1:2], off
	global_load_b32 v5, v[1:2], off offset:128
	global_load_b32 v6, v[1:2], off offset:256
	;; [unrolled: 1-line block ×15, first 2 shown]
	v_or_b32_e32 v2, v19, v39
	v_or_b32_e32 v28, 0xe0, v21
	;; [unrolled: 1-line block ×5, first 2 shown]
	v_lshlrev_b32_e32 v22, 4, v2
	v_bfe_u32 v2, v2, 1, 27
	v_or_b32_e32 v32, 0x160, v21
	v_or_b32_e32 v33, 0x180, v21
	;; [unrolled: 1-line block ×5, first 2 shown]
	v_add_lshl_u32 v21, v2, v22, 2
	v_lshrrev_b32_e32 v2, 5, v3
	v_lshrrev_b32_e32 v40, 5, v23
	;; [unrolled: 1-line block ×15, first 2 shown]
	v_add_lshl_u32 v22, v2, v3, 2
	v_add_lshl_u32 v23, v40, v23, 2
	;; [unrolled: 1-line block ×15, first 2 shown]
	v_min_u32_e32 v39, 32, v39
	s_mov_b32 s0, exec_lo
	s_waitcnt vmcnt(15)
	ds_store_b32 v20, v4
	s_waitcnt vmcnt(14)
	ds_store_b32 v22, v5
	;; [unrolled: 2-line block ×16, first 2 shown]
	; wave barrier
	ds_load_2addr_b32 v[11:12], v21 offset1:1
	ds_load_2addr_b32 v[9:10], v21 offset0:2 offset1:3
	ds_load_2addr_b32 v[5:6], v21 offset0:4 offset1:5
	;; [unrolled: 1-line block ×5, first 2 shown]
	v_or_b32_e32 v39, 31, v39
	s_waitcnt lgkmcnt(5)
	v_add_nc_u32_e32 v1, v12, v11
	s_waitcnt lgkmcnt(4)
	s_delay_alu instid0(VALU_DEP_1) | instskip(SKIP_1) | instid1(VALU_DEP_1)
	v_add3_u32 v1, v1, v9, v10
	s_waitcnt lgkmcnt(3)
	v_add3_u32 v37, v1, v5, v6
	ds_load_2addr_b32 v[7:8], v21 offset0:12 offset1:13
	ds_load_2addr_b32 v[1:2], v21 offset0:14 offset1:15
	s_waitcnt lgkmcnt(0)
	s_barrier
	buffer_gl0_inv
	v_add3_u32 v37, v37, v3, v4
	s_delay_alu instid0(VALU_DEP_1) | instskip(NEXT) | instid1(VALU_DEP_1)
	v_add3_u32 v37, v37, v13, v14
	v_add3_u32 v37, v37, v15, v16
	s_delay_alu instid0(VALU_DEP_1) | instskip(NEXT) | instid1(VALU_DEP_1)
	v_add3_u32 v37, v37, v7, v8
	v_add3_u32 v2, v37, v1, v2
	v_and_b32_e32 v37, 15, v19
	s_delay_alu instid0(VALU_DEP_2) | instskip(NEXT) | instid1(VALU_DEP_2)
	v_mov_b32_dpp v38, v2 row_shr:1 row_mask:0xf bank_mask:0xf
	v_cmp_ne_u32_e32 vcc_lo, 0, v37
	s_delay_alu instid0(VALU_DEP_2) | instskip(SKIP_1) | instid1(VALU_DEP_2)
	v_cndmask_b32_e32 v38, 0, v38, vcc_lo
	v_cmp_lt_u32_e32 vcc_lo, 1, v37
	v_add_nc_u32_e32 v2, v38, v2
	s_delay_alu instid0(VALU_DEP_1) | instskip(NEXT) | instid1(VALU_DEP_1)
	v_mov_b32_dpp v38, v2 row_shr:2 row_mask:0xf bank_mask:0xf
	v_cndmask_b32_e32 v38, 0, v38, vcc_lo
	v_cmp_lt_u32_e32 vcc_lo, 3, v37
	s_delay_alu instid0(VALU_DEP_2) | instskip(NEXT) | instid1(VALU_DEP_1)
	v_add_nc_u32_e32 v2, v2, v38
	v_mov_b32_dpp v38, v2 row_shr:4 row_mask:0xf bank_mask:0xf
	s_delay_alu instid0(VALU_DEP_1) | instskip(SKIP_1) | instid1(VALU_DEP_2)
	v_cndmask_b32_e32 v38, 0, v38, vcc_lo
	v_cmp_lt_u32_e32 vcc_lo, 7, v37
	v_add_nc_u32_e32 v2, v2, v38
	s_delay_alu instid0(VALU_DEP_1) | instskip(NEXT) | instid1(VALU_DEP_1)
	v_mov_b32_dpp v38, v2 row_shr:8 row_mask:0xf bank_mask:0xf
	v_cndmask_b32_e32 v37, 0, v38, vcc_lo
	v_bfe_i32 v38, v19, 4, 1
	s_delay_alu instid0(VALU_DEP_2) | instskip(SKIP_4) | instid1(VALU_DEP_2)
	v_add_nc_u32_e32 v2, v2, v37
	ds_swizzle_b32 v37, v2 offset:swizzle(BROADCAST,32,15)
	s_waitcnt lgkmcnt(0)
	v_and_b32_e32 v38, v38, v37
	v_lshrrev_b32_e32 v37, 5, v0
	v_add_nc_u32_e32 v2, v2, v38
	v_cmpx_eq_u32_e64 v39, v0
	s_cbranch_execz .LBB9_2
; %bb.1:
	s_delay_alu instid0(VALU_DEP_3)
	v_lshlrev_b32_e32 v38, 2, v37
	ds_store_b32 v38, v2
.LBB9_2:
	s_or_b32 exec_lo, exec_lo, s0
	s_delay_alu instid0(SALU_CYCLE_1)
	s_mov_b32 s0, exec_lo
	s_waitcnt lgkmcnt(0)
	s_barrier
	buffer_gl0_inv
	v_cmpx_gt_u32_e32 2, v0
	s_cbranch_execz .LBB9_4
; %bb.3:
	v_lshlrev_b32_e32 v38, 2, v0
	v_bfe_i32 v40, v19, 0, 1
	ds_load_b32 v39, v38
	s_waitcnt lgkmcnt(0)
	v_mov_b32_dpp v41, v39 row_shr:1 row_mask:0xf bank_mask:0xf
	s_delay_alu instid0(VALU_DEP_1) | instskip(NEXT) | instid1(VALU_DEP_1)
	v_and_b32_e32 v40, v40, v41
	v_add_nc_u32_e32 v39, v40, v39
	ds_store_b32 v38, v39
.LBB9_4:
	s_or_b32 exec_lo, exec_lo, s0
	v_dual_mov_b32 v38, 0 :: v_dual_mov_b32 v39, 0
	s_mov_b32 s0, exec_lo
	s_waitcnt lgkmcnt(0)
	s_barrier
	buffer_gl0_inv
	v_cmpx_lt_u32_e32 31, v0
	s_cbranch_execz .LBB9_6
; %bb.5:
	v_lshl_add_u32 v37, v37, 2, -4
	ds_load_b32 v39, v37
.LBB9_6:
	s_or_b32 exec_lo, exec_lo, s0
	v_add_nc_u32_e32 v37, -1, v19
	v_add_co_u32 v18, s0, s2, v18
	s_waitcnt lgkmcnt(0)
	v_add_nc_u32_e32 v2, v39, v2
	s_delay_alu instid0(VALU_DEP_3) | instskip(SKIP_3) | instid1(VALU_DEP_3)
	v_cmp_gt_i32_e32 vcc_lo, 0, v37
	v_cndmask_b32_e32 v37, v37, v19, vcc_lo
	v_cmp_eq_u32_e32 vcc_lo, 0, v19
	v_add_co_ci_u32_e64 v19, null, s3, 0, s0
	v_lshlrev_b32_e32 v37, 2, v37
	ds_bpermute_b32 v2, v37, v2
	s_waitcnt lgkmcnt(0)
	v_cndmask_b32_e32 v2, v2, v39, vcc_lo
	v_cmp_eq_u32_e32 vcc_lo, 0, v0
	ds_load_b32 v0, v38 offset:4
	s_waitcnt lgkmcnt(0)
	s_barrier
	buffer_gl0_inv
	v_cndmask_b32_e64 v2, v2, 0, vcc_lo
	s_delay_alu instid0(VALU_DEP_1) | instskip(NEXT) | instid1(VALU_DEP_1)
	v_add_nc_u32_e32 v11, v2, v11
	v_add_nc_u32_e32 v12, v11, v12
	s_delay_alu instid0(VALU_DEP_1) | instskip(NEXT) | instid1(VALU_DEP_1)
	v_add_nc_u32_e32 v9, v12, v9
	v_add_nc_u32_e32 v10, v9, v10
	s_delay_alu instid0(VALU_DEP_1) | instskip(NEXT) | instid1(VALU_DEP_1)
	v_add_nc_u32_e32 v5, v10, v5
	v_add_nc_u32_e32 v6, v5, v6
	s_delay_alu instid0(VALU_DEP_1) | instskip(NEXT) | instid1(VALU_DEP_1)
	v_add_nc_u32_e32 v3, v6, v3
	v_add_nc_u32_e32 v4, v3, v4
	s_delay_alu instid0(VALU_DEP_1) | instskip(NEXT) | instid1(VALU_DEP_1)
	v_add_nc_u32_e32 v13, v4, v13
	v_add_nc_u32_e32 v14, v13, v14
	s_delay_alu instid0(VALU_DEP_1) | instskip(NEXT) | instid1(VALU_DEP_1)
	v_add_nc_u32_e32 v15, v14, v15
	v_add_nc_u32_e32 v16, v15, v16
	s_delay_alu instid0(VALU_DEP_1) | instskip(NEXT) | instid1(VALU_DEP_1)
	v_add_nc_u32_e32 v7, v16, v7
	v_add_nc_u32_e32 v8, v7, v8
	s_delay_alu instid0(VALU_DEP_1)
	v_add_nc_u32_e32 v1, v8, v1
	ds_store_2addr_b32 v21, v2, v11 offset1:1
	ds_store_2addr_b32 v21, v12, v9 offset0:2 offset1:3
	ds_store_2addr_b32 v21, v10, v5 offset0:4 offset1:5
	;; [unrolled: 1-line block ×7, first 2 shown]
	; wave barrier
	ds_load_b32 v3, v20
	ds_load_b32 v4, v22
	;; [unrolled: 1-line block ×16, first 2 shown]
	v_add_co_u32 v1, s0, v18, v17
	s_delay_alu instid0(VALU_DEP_1)
	v_add_co_ci_u32_e64 v2, s0, 0, v19, s0
	s_waitcnt lgkmcnt(15)
	global_store_b32 v[1:2], v3, off
	s_waitcnt lgkmcnt(14)
	global_store_b32 v[1:2], v4, off offset:128
	s_waitcnt lgkmcnt(13)
	global_store_b32 v[1:2], v5, off offset:256
	;; [unrolled: 2-line block ×15, first 2 shown]
	s_and_saveexec_b32 s0, vcc_lo
	s_cbranch_execz .LBB9_8
; %bb.7:
	v_mov_b32_e32 v1, 0x1000
	global_store_b32 v1, v0, s[2:3]
.LBB9_8:
	s_nop 0
	s_sendmsg sendmsg(MSG_DEALLOC_VGPRS)
	s_endpgm
	.section	.rodata,"a",@progbits
	.p2align	6, 0x0
	.amdhsa_kernel _Z20BlockPrefixSumKernelILi64ELi16ELN6hipcub16HIPCUB_304000_NS18BlockScanAlgorithmE0EEvPKiPi
		.amdhsa_group_segment_fixed_size 4224
		.amdhsa_private_segment_fixed_size 0
		.amdhsa_kernarg_size 16
		.amdhsa_user_sgpr_count 15
		.amdhsa_user_sgpr_dispatch_ptr 0
		.amdhsa_user_sgpr_queue_ptr 0
		.amdhsa_user_sgpr_kernarg_segment_ptr 1
		.amdhsa_user_sgpr_dispatch_id 0
		.amdhsa_user_sgpr_private_segment_size 0
		.amdhsa_wavefront_size32 1
		.amdhsa_uses_dynamic_stack 0
		.amdhsa_enable_private_segment 0
		.amdhsa_system_sgpr_workgroup_id_x 1
		.amdhsa_system_sgpr_workgroup_id_y 0
		.amdhsa_system_sgpr_workgroup_id_z 0
		.amdhsa_system_sgpr_workgroup_info 0
		.amdhsa_system_vgpr_workitem_id 0
		.amdhsa_next_free_vgpr 54
		.amdhsa_next_free_sgpr 4
		.amdhsa_reserve_vcc 1
		.amdhsa_float_round_mode_32 0
		.amdhsa_float_round_mode_16_64 0
		.amdhsa_float_denorm_mode_32 3
		.amdhsa_float_denorm_mode_16_64 3
		.amdhsa_dx10_clamp 1
		.amdhsa_ieee_mode 1
		.amdhsa_fp16_overflow 0
		.amdhsa_workgroup_processor_mode 1
		.amdhsa_memory_ordered 1
		.amdhsa_forward_progress 0
		.amdhsa_shared_vgpr_count 0
		.amdhsa_exception_fp_ieee_invalid_op 0
		.amdhsa_exception_fp_denorm_src 0
		.amdhsa_exception_fp_ieee_div_zero 0
		.amdhsa_exception_fp_ieee_overflow 0
		.amdhsa_exception_fp_ieee_underflow 0
		.amdhsa_exception_fp_ieee_inexact 0
		.amdhsa_exception_int_div_zero 0
	.end_amdhsa_kernel
	.section	.text._Z20BlockPrefixSumKernelILi64ELi16ELN6hipcub16HIPCUB_304000_NS18BlockScanAlgorithmE0EEvPKiPi,"axG",@progbits,_Z20BlockPrefixSumKernelILi64ELi16ELN6hipcub16HIPCUB_304000_NS18BlockScanAlgorithmE0EEvPKiPi,comdat
.Lfunc_end9:
	.size	_Z20BlockPrefixSumKernelILi64ELi16ELN6hipcub16HIPCUB_304000_NS18BlockScanAlgorithmE0EEvPKiPi, .Lfunc_end9-_Z20BlockPrefixSumKernelILi64ELi16ELN6hipcub16HIPCUB_304000_NS18BlockScanAlgorithmE0EEvPKiPi
                                        ; -- End function
	.section	.AMDGPU.csdata,"",@progbits
; Kernel info:
; codeLenInByte = 1876
; NumSgprs: 6
; NumVgprs: 54
; ScratchSize: 0
; MemoryBound: 0
; FloatMode: 240
; IeeeMode: 1
; LDSByteSize: 4224 bytes/workgroup (compile time only)
; SGPRBlocks: 0
; VGPRBlocks: 6
; NumSGPRsForWavesPerEU: 6
; NumVGPRsForWavesPerEU: 54
; Occupancy: 16
; WaveLimiterHint : 1
; COMPUTE_PGM_RSRC2:SCRATCH_EN: 0
; COMPUTE_PGM_RSRC2:USER_SGPR: 15
; COMPUTE_PGM_RSRC2:TRAP_HANDLER: 0
; COMPUTE_PGM_RSRC2:TGID_X_EN: 1
; COMPUTE_PGM_RSRC2:TGID_Y_EN: 0
; COMPUTE_PGM_RSRC2:TGID_Z_EN: 0
; COMPUTE_PGM_RSRC2:TIDIG_COMP_CNT: 0
	.text
	.p2alignl 7, 3214868480
	.fill 96, 4, 3214868480
	.type	__hip_cuid_39c69897dbf4f9c5,@object ; @__hip_cuid_39c69897dbf4f9c5
	.section	.bss,"aw",@nobits
	.globl	__hip_cuid_39c69897dbf4f9c5
__hip_cuid_39c69897dbf4f9c5:
	.byte	0                               ; 0x0
	.size	__hip_cuid_39c69897dbf4f9c5, 1

	.ident	"AMD clang version 19.0.0git (https://github.com/RadeonOpenCompute/llvm-project roc-6.4.0 25133 c7fe45cf4b819c5991fe208aaa96edf142730f1d)"
	.section	".note.GNU-stack","",@progbits
	.addrsig
	.addrsig_sym __hip_cuid_39c69897dbf4f9c5
	.amdgpu_metadata
---
amdhsa.kernels:
  - .args:
      - .address_space:  global
        .offset:         0
        .size:           8
        .value_kind:     global_buffer
      - .address_space:  global
        .offset:         8
        .size:           8
        .value_kind:     global_buffer
    .group_segment_fixed_size: 4224
    .kernarg_segment_align: 8
    .kernarg_segment_size: 16
    .language:       OpenCL C
    .language_version:
      - 2
      - 0
    .max_flat_workgroup_size: 1024
    .name:           _Z20BlockPrefixSumKernelILi1024ELi1ELN6hipcub16HIPCUB_304000_NS18BlockScanAlgorithmE1EEvPKiPi
    .private_segment_fixed_size: 0
    .sgpr_count:     6
    .sgpr_spill_count: 0
    .symbol:         _Z20BlockPrefixSumKernelILi1024ELi1ELN6hipcub16HIPCUB_304000_NS18BlockScanAlgorithmE1EEvPKiPi.kd
    .uniform_work_group_size: 1
    .uses_dynamic_stack: false
    .vgpr_count:     36
    .vgpr_spill_count: 0
    .wavefront_size: 32
    .workgroup_processor_mode: 1
  - .args:
      - .address_space:  global
        .offset:         0
        .size:           8
        .value_kind:     global_buffer
      - .address_space:  global
        .offset:         8
        .size:           8
        .value_kind:     global_buffer
    .group_segment_fixed_size: 4224
    .kernarg_segment_align: 8
    .kernarg_segment_size: 16
    .language:       OpenCL C
    .language_version:
      - 2
      - 0
    .max_flat_workgroup_size: 1024
    .name:           _Z20BlockPrefixSumKernelILi512ELi2ELN6hipcub16HIPCUB_304000_NS18BlockScanAlgorithmE1EEvPKiPi
    .private_segment_fixed_size: 0
    .sgpr_count:     6
    .sgpr_spill_count: 0
    .symbol:         _Z20BlockPrefixSumKernelILi512ELi2ELN6hipcub16HIPCUB_304000_NS18BlockScanAlgorithmE1EEvPKiPi.kd
    .uniform_work_group_size: 1
    .uses_dynamic_stack: false
    .vgpr_count:     23
    .vgpr_spill_count: 0
    .wavefront_size: 32
    .workgroup_processor_mode: 1
  - .args:
      - .address_space:  global
        .offset:         0
        .size:           8
        .value_kind:     global_buffer
      - .address_space:  global
        .offset:         8
        .size:           8
        .value_kind:     global_buffer
    .group_segment_fixed_size: 4224
    .kernarg_segment_align: 8
    .kernarg_segment_size: 16
    .language:       OpenCL C
    .language_version:
      - 2
      - 0
    .max_flat_workgroup_size: 1024
    .name:           _Z20BlockPrefixSumKernelILi256ELi4ELN6hipcub16HIPCUB_304000_NS18BlockScanAlgorithmE1EEvPKiPi
    .private_segment_fixed_size: 0
    .sgpr_count:     6
    .sgpr_spill_count: 0
    .symbol:         _Z20BlockPrefixSumKernelILi256ELi4ELN6hipcub16HIPCUB_304000_NS18BlockScanAlgorithmE1EEvPKiPi.kd
    .uniform_work_group_size: 1
    .uses_dynamic_stack: false
    .vgpr_count:     22
    .vgpr_spill_count: 0
    .wavefront_size: 32
    .workgroup_processor_mode: 1
  - .args:
      - .address_space:  global
        .offset:         0
        .size:           8
        .value_kind:     global_buffer
      - .address_space:  global
        .offset:         8
        .size:           8
        .value_kind:     global_buffer
    .group_segment_fixed_size: 4224
    .kernarg_segment_align: 8
    .kernarg_segment_size: 16
    .language:       OpenCL C
    .language_version:
      - 2
      - 0
    .max_flat_workgroup_size: 1024
    .name:           _Z20BlockPrefixSumKernelILi128ELi8ELN6hipcub16HIPCUB_304000_NS18BlockScanAlgorithmE1EEvPKiPi
    .private_segment_fixed_size: 0
    .sgpr_count:     6
    .sgpr_spill_count: 0
    .symbol:         _Z20BlockPrefixSumKernelILi128ELi8ELN6hipcub16HIPCUB_304000_NS18BlockScanAlgorithmE1EEvPKiPi.kd
    .uniform_work_group_size: 1
    .uses_dynamic_stack: false
    .vgpr_count:     28
    .vgpr_spill_count: 0
    .wavefront_size: 32
    .workgroup_processor_mode: 1
  - .args:
      - .address_space:  global
        .offset:         0
        .size:           8
        .value_kind:     global_buffer
      - .address_space:  global
        .offset:         8
        .size:           8
        .value_kind:     global_buffer
    .group_segment_fixed_size: 4224
    .kernarg_segment_align: 8
    .kernarg_segment_size: 16
    .language:       OpenCL C
    .language_version:
      - 2
      - 0
    .max_flat_workgroup_size: 1024
    .name:           _Z20BlockPrefixSumKernelILi64ELi16ELN6hipcub16HIPCUB_304000_NS18BlockScanAlgorithmE1EEvPKiPi
    .private_segment_fixed_size: 0
    .sgpr_count:     6
    .sgpr_spill_count: 0
    .symbol:         _Z20BlockPrefixSumKernelILi64ELi16ELN6hipcub16HIPCUB_304000_NS18BlockScanAlgorithmE1EEvPKiPi.kd
    .uniform_work_group_size: 1
    .uses_dynamic_stack: false
    .vgpr_count:     52
    .vgpr_spill_count: 0
    .wavefront_size: 32
    .workgroup_processor_mode: 1
  - .args:
      - .address_space:  global
        .offset:         0
        .size:           8
        .value_kind:     global_buffer
      - .address_space:  global
        .offset:         8
        .size:           8
        .value_kind:     global_buffer
    .group_segment_fixed_size: 4096
    .kernarg_segment_align: 8
    .kernarg_segment_size: 16
    .language:       OpenCL C
    .language_version:
      - 2
      - 0
    .max_flat_workgroup_size: 1024
    .name:           _Z20BlockPrefixSumKernelILi1024ELi1ELN6hipcub16HIPCUB_304000_NS18BlockScanAlgorithmE0EEvPKiPi
    .private_segment_fixed_size: 0
    .sgpr_count:     11
    .sgpr_spill_count: 0
    .symbol:         _Z20BlockPrefixSumKernelILi1024ELi1ELN6hipcub16HIPCUB_304000_NS18BlockScanAlgorithmE0EEvPKiPi.kd
    .uniform_work_group_size: 1
    .uses_dynamic_stack: false
    .vgpr_count:     10
    .vgpr_spill_count: 0
    .wavefront_size: 32
    .workgroup_processor_mode: 1
  - .args:
      - .address_space:  global
        .offset:         0
        .size:           8
        .value_kind:     global_buffer
      - .address_space:  global
        .offset:         8
        .size:           8
        .value_kind:     global_buffer
    .group_segment_fixed_size: 4224
    .kernarg_segment_align: 8
    .kernarg_segment_size: 16
    .language:       OpenCL C
    .language_version:
      - 2
      - 0
    .max_flat_workgroup_size: 1024
    .name:           _Z20BlockPrefixSumKernelILi512ELi2ELN6hipcub16HIPCUB_304000_NS18BlockScanAlgorithmE0EEvPKiPi
    .private_segment_fixed_size: 0
    .sgpr_count:     10
    .sgpr_spill_count: 0
    .symbol:         _Z20BlockPrefixSumKernelILi512ELi2ELN6hipcub16HIPCUB_304000_NS18BlockScanAlgorithmE0EEvPKiPi.kd
    .uniform_work_group_size: 1
    .uses_dynamic_stack: false
    .vgpr_count:     13
    .vgpr_spill_count: 0
    .wavefront_size: 32
    .workgroup_processor_mode: 1
  - .args:
      - .address_space:  global
        .offset:         0
        .size:           8
        .value_kind:     global_buffer
      - .address_space:  global
        .offset:         8
        .size:           8
        .value_kind:     global_buffer
    .group_segment_fixed_size: 4224
    .kernarg_segment_align: 8
    .kernarg_segment_size: 16
    .language:       OpenCL C
    .language_version:
      - 2
      - 0
    .max_flat_workgroup_size: 1024
    .name:           _Z20BlockPrefixSumKernelILi256ELi4ELN6hipcub16HIPCUB_304000_NS18BlockScanAlgorithmE0EEvPKiPi
    .private_segment_fixed_size: 0
    .sgpr_count:     6
    .sgpr_spill_count: 0
    .symbol:         _Z20BlockPrefixSumKernelILi256ELi4ELN6hipcub16HIPCUB_304000_NS18BlockScanAlgorithmE0EEvPKiPi.kd
    .uniform_work_group_size: 1
    .uses_dynamic_stack: false
    .vgpr_count:     21
    .vgpr_spill_count: 0
    .wavefront_size: 32
    .workgroup_processor_mode: 1
  - .args:
      - .address_space:  global
        .offset:         0
        .size:           8
        .value_kind:     global_buffer
      - .address_space:  global
        .offset:         8
        .size:           8
        .value_kind:     global_buffer
    .group_segment_fixed_size: 4224
    .kernarg_segment_align: 8
    .kernarg_segment_size: 16
    .language:       OpenCL C
    .language_version:
      - 2
      - 0
    .max_flat_workgroup_size: 1024
    .name:           _Z20BlockPrefixSumKernelILi128ELi8ELN6hipcub16HIPCUB_304000_NS18BlockScanAlgorithmE0EEvPKiPi
    .private_segment_fixed_size: 0
    .sgpr_count:     6
    .sgpr_spill_count: 0
    .symbol:         _Z20BlockPrefixSumKernelILi128ELi8ELN6hipcub16HIPCUB_304000_NS18BlockScanAlgorithmE0EEvPKiPi.kd
    .uniform_work_group_size: 1
    .uses_dynamic_stack: false
    .vgpr_count:     30
    .vgpr_spill_count: 0
    .wavefront_size: 32
    .workgroup_processor_mode: 1
  - .args:
      - .address_space:  global
        .offset:         0
        .size:           8
        .value_kind:     global_buffer
      - .address_space:  global
        .offset:         8
        .size:           8
        .value_kind:     global_buffer
    .group_segment_fixed_size: 4224
    .kernarg_segment_align: 8
    .kernarg_segment_size: 16
    .language:       OpenCL C
    .language_version:
      - 2
      - 0
    .max_flat_workgroup_size: 1024
    .name:           _Z20BlockPrefixSumKernelILi64ELi16ELN6hipcub16HIPCUB_304000_NS18BlockScanAlgorithmE0EEvPKiPi
    .private_segment_fixed_size: 0
    .sgpr_count:     6
    .sgpr_spill_count: 0
    .symbol:         _Z20BlockPrefixSumKernelILi64ELi16ELN6hipcub16HIPCUB_304000_NS18BlockScanAlgorithmE0EEvPKiPi.kd
    .uniform_work_group_size: 1
    .uses_dynamic_stack: false
    .vgpr_count:     54
    .vgpr_spill_count: 0
    .wavefront_size: 32
    .workgroup_processor_mode: 1
amdhsa.target:   amdgcn-amd-amdhsa--gfx1100
amdhsa.version:
  - 1
  - 2
...

	.end_amdgpu_metadata
